;; amdgpu-corpus repo=ROCm/rocSPARSE kind=compiled arch=gfx906 opt=O3
	.amdgcn_target "amdgcn-amd-amdhsa--gfx906"
	.amdhsa_code_object_version 6
	.section	.text._ZN9rocsparseL23sddmm_ell_sample_kernelILi16ELi32EDF16_iDF16_EEvT2_S1_PKT3_lS1_PS2_PKS1_21rocsparse_index_base_,"axG",@progbits,_ZN9rocsparseL23sddmm_ell_sample_kernelILi16ELi32EDF16_iDF16_EEvT2_S1_PKT3_lS1_PS2_PKS1_21rocsparse_index_base_,comdat
	.globl	_ZN9rocsparseL23sddmm_ell_sample_kernelILi16ELi32EDF16_iDF16_EEvT2_S1_PKT3_lS1_PS2_PKS1_21rocsparse_index_base_ ; -- Begin function _ZN9rocsparseL23sddmm_ell_sample_kernelILi16ELi32EDF16_iDF16_EEvT2_S1_PKT3_lS1_PS2_PKS1_21rocsparse_index_base_
	.p2align	8
	.type	_ZN9rocsparseL23sddmm_ell_sample_kernelILi16ELi32EDF16_iDF16_EEvT2_S1_PKT3_lS1_PS2_PKS1_21rocsparse_index_base_,@function
_ZN9rocsparseL23sddmm_ell_sample_kernelILi16ELi32EDF16_iDF16_EEvT2_S1_PKT3_lS1_PS2_PKS1_21rocsparse_index_base_: ; @_ZN9rocsparseL23sddmm_ell_sample_kernelILi16ELi32EDF16_iDF16_EEvT2_S1_PKT3_lS1_PS2_PKS1_21rocsparse_index_base_
; %bb.0:
	s_load_dword s0, s[4:5], 0x18
	v_lshrrev_b32_e32 v1, 5, v0
	v_lshl_or_b32 v1, s6, 4, v1
	s_waitcnt lgkmcnt(0)
	v_cmp_gt_u32_e32 vcc, s0, v1
	s_and_saveexec_b64 s[0:1], vcc
	s_cbranch_execz .LBB0_6
; %bb.1:
	s_load_dwordx2 s[2:3], s[4:5], 0x0
	v_and_b32_e32 v4, 31, v0
	s_waitcnt lgkmcnt(0)
	v_cmp_gt_i32_e32 vcc, s2, v4
	s_and_b64 exec, exec, vcc
	s_cbranch_execz .LBB0_6
; %bb.2:
	s_load_dwordx4 s[16:19], s[4:5], 0x8
	s_load_dwordx4 s[8:11], s[4:5], 0x20
	s_load_dword s12, s[4:5], 0x30
	v_mul_lo_u32 v5, v1, s2
	v_and_b32_e32 v0, 31, v0
	v_lshlrev_b32_e32 v0, 1, v0
	s_waitcnt lgkmcnt(0)
	v_mov_b32_e32 v3, s17
	v_add_co_u32_e32 v2, vcc, s16, v0
	s_lshl_b64 s[4:5], s[18:19], 1
	v_mov_b32_e32 v1, 0
	v_addc_co_u32_e32 v3, vcc, 0, v3, vcc
	s_mov_b64 s[6:7], 0
	v_mov_b32_e32 v6, s11
	s_branch .LBB0_4
.LBB0_3:                                ;   in Loop: Header=BB0_4 Depth=1
	s_or_b64 exec, exec, s[0:1]
	v_add_u32_e32 v4, 32, v4
	v_cmp_le_i32_e32 vcc, s2, v4
	s_or_b64 s[6:7], vcc, s[6:7]
	v_add_co_u32_e32 v2, vcc, 64, v2
	v_addc_co_u32_e32 v3, vcc, 0, v3, vcc
	s_andn2_b64 exec, exec, s[6:7]
	s_cbranch_execz .LBB0_6
.LBB0_4:                                ; =>This Inner Loop Header: Depth=1
	v_add_u32_e32 v0, v5, v4
	v_lshlrev_b64 v[7:8], 2, v[0:1]
	v_add_co_u32_e32 v7, vcc, s10, v7
	v_addc_co_u32_e32 v8, vcc, v6, v8, vcc
	global_load_dword v7, v[7:8], off
	s_waitcnt vmcnt(0)
	v_subrev_u32_e32 v7, s12, v7
	v_cmp_lt_i32_e32 vcc, -1, v7
	v_cmp_gt_i32_e64 s[0:1], s3, v7
	s_and_b64 s[14:15], vcc, s[0:1]
	s_and_saveexec_b64 s[0:1], s[14:15]
	s_cbranch_execz .LBB0_3
; %bb.5:                                ;   in Loop: Header=BB0_4 Depth=1
	v_mad_u64_u32 v[8:9], s[14:15], s4, v7, v[2:3]
	v_mad_u64_u32 v[9:10], s[14:15], s5, v7, v[9:10]
	global_load_ushort v9, v[8:9], off
	v_lshlrev_b64 v[7:8], 1, v[0:1]
	v_mov_b32_e32 v0, s9
	v_add_co_u32_e32 v7, vcc, s8, v7
	v_addc_co_u32_e32 v8, vcc, v0, v8, vcc
	s_waitcnt vmcnt(0)
	global_store_short v[7:8], v9, off
	s_branch .LBB0_3
.LBB0_6:
	s_endpgm
	.section	.rodata,"a",@progbits
	.p2align	6, 0x0
	.amdhsa_kernel _ZN9rocsparseL23sddmm_ell_sample_kernelILi16ELi32EDF16_iDF16_EEvT2_S1_PKT3_lS1_PS2_PKS1_21rocsparse_index_base_
		.amdhsa_group_segment_fixed_size 0
		.amdhsa_private_segment_fixed_size 0
		.amdhsa_kernarg_size 52
		.amdhsa_user_sgpr_count 6
		.amdhsa_user_sgpr_private_segment_buffer 1
		.amdhsa_user_sgpr_dispatch_ptr 0
		.amdhsa_user_sgpr_queue_ptr 0
		.amdhsa_user_sgpr_kernarg_segment_ptr 1
		.amdhsa_user_sgpr_dispatch_id 0
		.amdhsa_user_sgpr_flat_scratch_init 0
		.amdhsa_user_sgpr_private_segment_size 0
		.amdhsa_uses_dynamic_stack 0
		.amdhsa_system_sgpr_private_segment_wavefront_offset 0
		.amdhsa_system_sgpr_workgroup_id_x 1
		.amdhsa_system_sgpr_workgroup_id_y 0
		.amdhsa_system_sgpr_workgroup_id_z 0
		.amdhsa_system_sgpr_workgroup_info 0
		.amdhsa_system_vgpr_workitem_id 0
		.amdhsa_next_free_vgpr 11
		.amdhsa_next_free_sgpr 20
		.amdhsa_reserve_vcc 1
		.amdhsa_reserve_flat_scratch 0
		.amdhsa_float_round_mode_32 0
		.amdhsa_float_round_mode_16_64 0
		.amdhsa_float_denorm_mode_32 3
		.amdhsa_float_denorm_mode_16_64 3
		.amdhsa_dx10_clamp 1
		.amdhsa_ieee_mode 1
		.amdhsa_fp16_overflow 0
		.amdhsa_exception_fp_ieee_invalid_op 0
		.amdhsa_exception_fp_denorm_src 0
		.amdhsa_exception_fp_ieee_div_zero 0
		.amdhsa_exception_fp_ieee_overflow 0
		.amdhsa_exception_fp_ieee_underflow 0
		.amdhsa_exception_fp_ieee_inexact 0
		.amdhsa_exception_int_div_zero 0
	.end_amdhsa_kernel
	.section	.text._ZN9rocsparseL23sddmm_ell_sample_kernelILi16ELi32EDF16_iDF16_EEvT2_S1_PKT3_lS1_PS2_PKS1_21rocsparse_index_base_,"axG",@progbits,_ZN9rocsparseL23sddmm_ell_sample_kernelILi16ELi32EDF16_iDF16_EEvT2_S1_PKT3_lS1_PS2_PKS1_21rocsparse_index_base_,comdat
.Lfunc_end0:
	.size	_ZN9rocsparseL23sddmm_ell_sample_kernelILi16ELi32EDF16_iDF16_EEvT2_S1_PKT3_lS1_PS2_PKS1_21rocsparse_index_base_, .Lfunc_end0-_ZN9rocsparseL23sddmm_ell_sample_kernelILi16ELi32EDF16_iDF16_EEvT2_S1_PKT3_lS1_PS2_PKS1_21rocsparse_index_base_
                                        ; -- End function
	.set _ZN9rocsparseL23sddmm_ell_sample_kernelILi16ELi32EDF16_iDF16_EEvT2_S1_PKT3_lS1_PS2_PKS1_21rocsparse_index_base_.num_vgpr, 11
	.set _ZN9rocsparseL23sddmm_ell_sample_kernelILi16ELi32EDF16_iDF16_EEvT2_S1_PKT3_lS1_PS2_PKS1_21rocsparse_index_base_.num_agpr, 0
	.set _ZN9rocsparseL23sddmm_ell_sample_kernelILi16ELi32EDF16_iDF16_EEvT2_S1_PKT3_lS1_PS2_PKS1_21rocsparse_index_base_.numbered_sgpr, 20
	.set _ZN9rocsparseL23sddmm_ell_sample_kernelILi16ELi32EDF16_iDF16_EEvT2_S1_PKT3_lS1_PS2_PKS1_21rocsparse_index_base_.num_named_barrier, 0
	.set _ZN9rocsparseL23sddmm_ell_sample_kernelILi16ELi32EDF16_iDF16_EEvT2_S1_PKT3_lS1_PS2_PKS1_21rocsparse_index_base_.private_seg_size, 0
	.set _ZN9rocsparseL23sddmm_ell_sample_kernelILi16ELi32EDF16_iDF16_EEvT2_S1_PKT3_lS1_PS2_PKS1_21rocsparse_index_base_.uses_vcc, 1
	.set _ZN9rocsparseL23sddmm_ell_sample_kernelILi16ELi32EDF16_iDF16_EEvT2_S1_PKT3_lS1_PS2_PKS1_21rocsparse_index_base_.uses_flat_scratch, 0
	.set _ZN9rocsparseL23sddmm_ell_sample_kernelILi16ELi32EDF16_iDF16_EEvT2_S1_PKT3_lS1_PS2_PKS1_21rocsparse_index_base_.has_dyn_sized_stack, 0
	.set _ZN9rocsparseL23sddmm_ell_sample_kernelILi16ELi32EDF16_iDF16_EEvT2_S1_PKT3_lS1_PS2_PKS1_21rocsparse_index_base_.has_recursion, 0
	.set _ZN9rocsparseL23sddmm_ell_sample_kernelILi16ELi32EDF16_iDF16_EEvT2_S1_PKT3_lS1_PS2_PKS1_21rocsparse_index_base_.has_indirect_call, 0
	.section	.AMDGPU.csdata,"",@progbits
; Kernel info:
; codeLenInByte = 296
; TotalNumSgprs: 24
; NumVgprs: 11
; ScratchSize: 0
; MemoryBound: 0
; FloatMode: 240
; IeeeMode: 1
; LDSByteSize: 0 bytes/workgroup (compile time only)
; SGPRBlocks: 2
; VGPRBlocks: 2
; NumSGPRsForWavesPerEU: 24
; NumVGPRsForWavesPerEU: 11
; Occupancy: 10
; WaveLimiterHint : 1
; COMPUTE_PGM_RSRC2:SCRATCH_EN: 0
; COMPUTE_PGM_RSRC2:USER_SGPR: 6
; COMPUTE_PGM_RSRC2:TRAP_HANDLER: 0
; COMPUTE_PGM_RSRC2:TGID_X_EN: 1
; COMPUTE_PGM_RSRC2:TGID_Y_EN: 0
; COMPUTE_PGM_RSRC2:TGID_Z_EN: 0
; COMPUTE_PGM_RSRC2:TIDIG_COMP_CNT: 0
	.section	.text._ZN9rocsparseL23sddmm_ell_sample_kernelILi16ELi64EDF16_iDF16_EEvT2_S1_PKT3_lS1_PS2_PKS1_21rocsparse_index_base_,"axG",@progbits,_ZN9rocsparseL23sddmm_ell_sample_kernelILi16ELi64EDF16_iDF16_EEvT2_S1_PKT3_lS1_PS2_PKS1_21rocsparse_index_base_,comdat
	.globl	_ZN9rocsparseL23sddmm_ell_sample_kernelILi16ELi64EDF16_iDF16_EEvT2_S1_PKT3_lS1_PS2_PKS1_21rocsparse_index_base_ ; -- Begin function _ZN9rocsparseL23sddmm_ell_sample_kernelILi16ELi64EDF16_iDF16_EEvT2_S1_PKT3_lS1_PS2_PKS1_21rocsparse_index_base_
	.p2align	8
	.type	_ZN9rocsparseL23sddmm_ell_sample_kernelILi16ELi64EDF16_iDF16_EEvT2_S1_PKT3_lS1_PS2_PKS1_21rocsparse_index_base_,@function
_ZN9rocsparseL23sddmm_ell_sample_kernelILi16ELi64EDF16_iDF16_EEvT2_S1_PKT3_lS1_PS2_PKS1_21rocsparse_index_base_: ; @_ZN9rocsparseL23sddmm_ell_sample_kernelILi16ELi64EDF16_iDF16_EEvT2_S1_PKT3_lS1_PS2_PKS1_21rocsparse_index_base_
; %bb.0:
	s_load_dword s0, s[4:5], 0x18
	v_lshrrev_b32_e32 v1, 6, v0
	v_lshl_or_b32 v1, s6, 4, v1
	s_waitcnt lgkmcnt(0)
	v_cmp_gt_u32_e32 vcc, s0, v1
	s_and_saveexec_b64 s[0:1], vcc
	s_cbranch_execz .LBB1_6
; %bb.1:
	s_load_dwordx2 s[2:3], s[4:5], 0x0
	v_and_b32_e32 v4, 63, v0
	s_waitcnt lgkmcnt(0)
	v_cmp_gt_i32_e32 vcc, s2, v4
	s_and_b64 exec, exec, vcc
	s_cbranch_execz .LBB1_6
; %bb.2:
	s_load_dwordx4 s[16:19], s[4:5], 0x8
	s_load_dwordx4 s[8:11], s[4:5], 0x20
	s_load_dword s12, s[4:5], 0x30
	v_mul_lo_u32 v5, v1, s2
	v_and_b32_e32 v0, 63, v0
	v_lshlrev_b32_e32 v0, 1, v0
	s_waitcnt lgkmcnt(0)
	v_mov_b32_e32 v3, s17
	v_add_co_u32_e32 v2, vcc, s16, v0
	s_lshl_b64 s[4:5], s[18:19], 1
	v_mov_b32_e32 v1, 0
	v_addc_co_u32_e32 v3, vcc, 0, v3, vcc
	s_mov_b64 s[6:7], 0
	v_mov_b32_e32 v6, s11
	s_branch .LBB1_4
.LBB1_3:                                ;   in Loop: Header=BB1_4 Depth=1
	s_or_b64 exec, exec, s[0:1]
	v_add_u32_e32 v4, 64, v4
	v_add_co_u32_e32 v2, vcc, 0x80, v2
	v_cmp_le_i32_e64 s[0:1], s2, v4
	s_or_b64 s[6:7], s[0:1], s[6:7]
	v_addc_co_u32_e32 v3, vcc, 0, v3, vcc
	s_andn2_b64 exec, exec, s[6:7]
	s_cbranch_execz .LBB1_6
.LBB1_4:                                ; =>This Inner Loop Header: Depth=1
	v_add_u32_e32 v0, v5, v4
	v_lshlrev_b64 v[7:8], 2, v[0:1]
	v_add_co_u32_e32 v7, vcc, s10, v7
	v_addc_co_u32_e32 v8, vcc, v6, v8, vcc
	global_load_dword v7, v[7:8], off
	s_waitcnt vmcnt(0)
	v_subrev_u32_e32 v7, s12, v7
	v_cmp_lt_i32_e32 vcc, -1, v7
	v_cmp_gt_i32_e64 s[0:1], s3, v7
	s_and_b64 s[14:15], vcc, s[0:1]
	s_and_saveexec_b64 s[0:1], s[14:15]
	s_cbranch_execz .LBB1_3
; %bb.5:                                ;   in Loop: Header=BB1_4 Depth=1
	v_mad_u64_u32 v[8:9], s[14:15], s4, v7, v[2:3]
	v_mad_u64_u32 v[9:10], s[14:15], s5, v7, v[9:10]
	global_load_ushort v9, v[8:9], off
	v_lshlrev_b64 v[7:8], 1, v[0:1]
	v_mov_b32_e32 v0, s9
	v_add_co_u32_e32 v7, vcc, s8, v7
	v_addc_co_u32_e32 v8, vcc, v0, v8, vcc
	s_waitcnt vmcnt(0)
	global_store_short v[7:8], v9, off
	s_branch .LBB1_3
.LBB1_6:
	s_endpgm
	.section	.rodata,"a",@progbits
	.p2align	6, 0x0
	.amdhsa_kernel _ZN9rocsparseL23sddmm_ell_sample_kernelILi16ELi64EDF16_iDF16_EEvT2_S1_PKT3_lS1_PS2_PKS1_21rocsparse_index_base_
		.amdhsa_group_segment_fixed_size 0
		.amdhsa_private_segment_fixed_size 0
		.amdhsa_kernarg_size 52
		.amdhsa_user_sgpr_count 6
		.amdhsa_user_sgpr_private_segment_buffer 1
		.amdhsa_user_sgpr_dispatch_ptr 0
		.amdhsa_user_sgpr_queue_ptr 0
		.amdhsa_user_sgpr_kernarg_segment_ptr 1
		.amdhsa_user_sgpr_dispatch_id 0
		.amdhsa_user_sgpr_flat_scratch_init 0
		.amdhsa_user_sgpr_private_segment_size 0
		.amdhsa_uses_dynamic_stack 0
		.amdhsa_system_sgpr_private_segment_wavefront_offset 0
		.amdhsa_system_sgpr_workgroup_id_x 1
		.amdhsa_system_sgpr_workgroup_id_y 0
		.amdhsa_system_sgpr_workgroup_id_z 0
		.amdhsa_system_sgpr_workgroup_info 0
		.amdhsa_system_vgpr_workitem_id 0
		.amdhsa_next_free_vgpr 11
		.amdhsa_next_free_sgpr 20
		.amdhsa_reserve_vcc 1
		.amdhsa_reserve_flat_scratch 0
		.amdhsa_float_round_mode_32 0
		.amdhsa_float_round_mode_16_64 0
		.amdhsa_float_denorm_mode_32 3
		.amdhsa_float_denorm_mode_16_64 3
		.amdhsa_dx10_clamp 1
		.amdhsa_ieee_mode 1
		.amdhsa_fp16_overflow 0
		.amdhsa_exception_fp_ieee_invalid_op 0
		.amdhsa_exception_fp_denorm_src 0
		.amdhsa_exception_fp_ieee_div_zero 0
		.amdhsa_exception_fp_ieee_overflow 0
		.amdhsa_exception_fp_ieee_underflow 0
		.amdhsa_exception_fp_ieee_inexact 0
		.amdhsa_exception_int_div_zero 0
	.end_amdhsa_kernel
	.section	.text._ZN9rocsparseL23sddmm_ell_sample_kernelILi16ELi64EDF16_iDF16_EEvT2_S1_PKT3_lS1_PS2_PKS1_21rocsparse_index_base_,"axG",@progbits,_ZN9rocsparseL23sddmm_ell_sample_kernelILi16ELi64EDF16_iDF16_EEvT2_S1_PKT3_lS1_PS2_PKS1_21rocsparse_index_base_,comdat
.Lfunc_end1:
	.size	_ZN9rocsparseL23sddmm_ell_sample_kernelILi16ELi64EDF16_iDF16_EEvT2_S1_PKT3_lS1_PS2_PKS1_21rocsparse_index_base_, .Lfunc_end1-_ZN9rocsparseL23sddmm_ell_sample_kernelILi16ELi64EDF16_iDF16_EEvT2_S1_PKT3_lS1_PS2_PKS1_21rocsparse_index_base_
                                        ; -- End function
	.set _ZN9rocsparseL23sddmm_ell_sample_kernelILi16ELi64EDF16_iDF16_EEvT2_S1_PKT3_lS1_PS2_PKS1_21rocsparse_index_base_.num_vgpr, 11
	.set _ZN9rocsparseL23sddmm_ell_sample_kernelILi16ELi64EDF16_iDF16_EEvT2_S1_PKT3_lS1_PS2_PKS1_21rocsparse_index_base_.num_agpr, 0
	.set _ZN9rocsparseL23sddmm_ell_sample_kernelILi16ELi64EDF16_iDF16_EEvT2_S1_PKT3_lS1_PS2_PKS1_21rocsparse_index_base_.numbered_sgpr, 20
	.set _ZN9rocsparseL23sddmm_ell_sample_kernelILi16ELi64EDF16_iDF16_EEvT2_S1_PKT3_lS1_PS2_PKS1_21rocsparse_index_base_.num_named_barrier, 0
	.set _ZN9rocsparseL23sddmm_ell_sample_kernelILi16ELi64EDF16_iDF16_EEvT2_S1_PKT3_lS1_PS2_PKS1_21rocsparse_index_base_.private_seg_size, 0
	.set _ZN9rocsparseL23sddmm_ell_sample_kernelILi16ELi64EDF16_iDF16_EEvT2_S1_PKT3_lS1_PS2_PKS1_21rocsparse_index_base_.uses_vcc, 1
	.set _ZN9rocsparseL23sddmm_ell_sample_kernelILi16ELi64EDF16_iDF16_EEvT2_S1_PKT3_lS1_PS2_PKS1_21rocsparse_index_base_.uses_flat_scratch, 0
	.set _ZN9rocsparseL23sddmm_ell_sample_kernelILi16ELi64EDF16_iDF16_EEvT2_S1_PKT3_lS1_PS2_PKS1_21rocsparse_index_base_.has_dyn_sized_stack, 0
	.set _ZN9rocsparseL23sddmm_ell_sample_kernelILi16ELi64EDF16_iDF16_EEvT2_S1_PKT3_lS1_PS2_PKS1_21rocsparse_index_base_.has_recursion, 0
	.set _ZN9rocsparseL23sddmm_ell_sample_kernelILi16ELi64EDF16_iDF16_EEvT2_S1_PKT3_lS1_PS2_PKS1_21rocsparse_index_base_.has_indirect_call, 0
	.section	.AMDGPU.csdata,"",@progbits
; Kernel info:
; codeLenInByte = 304
; TotalNumSgprs: 24
; NumVgprs: 11
; ScratchSize: 0
; MemoryBound: 0
; FloatMode: 240
; IeeeMode: 1
; LDSByteSize: 0 bytes/workgroup (compile time only)
; SGPRBlocks: 2
; VGPRBlocks: 2
; NumSGPRsForWavesPerEU: 24
; NumVGPRsForWavesPerEU: 11
; Occupancy: 10
; WaveLimiterHint : 1
; COMPUTE_PGM_RSRC2:SCRATCH_EN: 0
; COMPUTE_PGM_RSRC2:USER_SGPR: 6
; COMPUTE_PGM_RSRC2:TRAP_HANDLER: 0
; COMPUTE_PGM_RSRC2:TGID_X_EN: 1
; COMPUTE_PGM_RSRC2:TGID_Y_EN: 0
; COMPUTE_PGM_RSRC2:TGID_Z_EN: 0
; COMPUTE_PGM_RSRC2:TIDIG_COMP_CNT: 0
	.section	.text._ZN9rocsparseL16sddmm_ell_kernelILi512ELi8EDF16_iiDF16_DF16_DF16_EEv20rocsparse_operation_S1_16rocsparse_order_S2_T3_S3_S3_T2_NS_24const_host_device_scalarIT1_EEPKT4_lPKT5_lS7_PT6_PKS3_21rocsparse_index_base_b,"axG",@progbits,_ZN9rocsparseL16sddmm_ell_kernelILi512ELi8EDF16_iiDF16_DF16_DF16_EEv20rocsparse_operation_S1_16rocsparse_order_S2_T3_S3_S3_T2_NS_24const_host_device_scalarIT1_EEPKT4_lPKT5_lS7_PT6_PKS3_21rocsparse_index_base_b,comdat
	.globl	_ZN9rocsparseL16sddmm_ell_kernelILi512ELi8EDF16_iiDF16_DF16_DF16_EEv20rocsparse_operation_S1_16rocsparse_order_S2_T3_S3_S3_T2_NS_24const_host_device_scalarIT1_EEPKT4_lPKT5_lS7_PT6_PKS3_21rocsparse_index_base_b ; -- Begin function _ZN9rocsparseL16sddmm_ell_kernelILi512ELi8EDF16_iiDF16_DF16_DF16_EEv20rocsparse_operation_S1_16rocsparse_order_S2_T3_S3_S3_T2_NS_24const_host_device_scalarIT1_EEPKT4_lPKT5_lS7_PT6_PKS3_21rocsparse_index_base_b
	.p2align	8
	.type	_ZN9rocsparseL16sddmm_ell_kernelILi512ELi8EDF16_iiDF16_DF16_DF16_EEv20rocsparse_operation_S1_16rocsparse_order_S2_T3_S3_S3_T2_NS_24const_host_device_scalarIT1_EEPKT4_lPKT5_lS7_PT6_PKS3_21rocsparse_index_base_b,@function
_ZN9rocsparseL16sddmm_ell_kernelILi512ELi8EDF16_iiDF16_DF16_DF16_EEv20rocsparse_operation_S1_16rocsparse_order_S2_T3_S3_S3_T2_NS_24const_host_device_scalarIT1_EEPKT4_lPKT5_lS7_PT6_PKS3_21rocsparse_index_base_b: ; @_ZN9rocsparseL16sddmm_ell_kernelILi512ELi8EDF16_iiDF16_DF16_DF16_EEv20rocsparse_operation_S1_16rocsparse_order_S2_T3_S3_S3_T2_NS_24const_host_device_scalarIT1_EEPKT4_lPKT5_lS7_PT6_PKS3_21rocsparse_index_base_b
; %bb.0:
	s_load_dwordx2 s[2:3], s[4:5], 0x60
	s_load_dwordx2 s[12:13], s[4:5], 0x20
	s_load_dwordx4 s[8:11], s[4:5], 0x40
	s_waitcnt lgkmcnt(0)
	s_bitcmp1_b32 s3, 0
	s_cselect_b64 s[14:15], -1, 0
	s_xor_b64 s[0:1], s[14:15], -1
	s_and_b64 vcc, exec, s[14:15]
	v_mov_b32_e32 v9, s12
	s_cbranch_vccnz .LBB2_2
; %bb.1:
	v_mov_b32_e32 v1, 0
	global_load_ushort v9, v1, s[12:13]
.LBB2_2:
	s_andn2_b64 vcc, exec, s[0:1]
	v_mov_b32_e32 v10, s10
	s_cbranch_vccnz .LBB2_4
; %bb.3:
	v_mov_b32_e32 v1, 0
	global_load_ushort v10, v1, s[10:11]
.LBB2_4:
	s_waitcnt vmcnt(0)
	v_cmp_eq_f16_e32 vcc, 0, v9
	v_cmp_eq_f16_e64 s[0:1], 1.0, v10
	s_and_b64 s[0:1], vcc, s[0:1]
	s_and_b64 vcc, exec, s[0:1]
	s_cbranch_vccnz .LBB2_35
; %bb.5:
	s_load_dwordx2 s[10:11], s[4:5], 0x18
	v_lshrrev_b32_e32 v11, 3, v0
	v_lshl_or_b32 v1, s6, 6, v11
	s_waitcnt lgkmcnt(0)
	v_cmp_gt_i32_e32 vcc, s11, v1
	s_and_saveexec_b64 s[0:1], vcc
	s_cbranch_execz .LBB2_35
; %bb.6:
	s_load_dwordx2 s[0:1], s[4:5], 0x58
	v_ashrrev_i32_e32 v2, 31, v1
	v_lshlrev_b64 v[3:4], 2, v[1:2]
	s_waitcnt lgkmcnt(0)
	v_mov_b32_e32 v5, s1
	v_add_co_u32_e32 v3, vcc, s0, v3
	v_addc_co_u32_e32 v4, vcc, v5, v4, vcc
	global_load_dword v3, v[3:4], off
	s_waitcnt vmcnt(0)
	v_subrev_u32_e32 v3, s2, v3
	v_cmp_lt_i32_e32 vcc, -1, v3
	s_and_b64 exec, exec, vcc
	s_cbranch_execz .LBB2_35
; %bb.7:
	s_load_dwordx4 s[0:3], s[4:5], 0x0
	s_load_dword s11, s[4:5], 0x10
	v_sub_u32_e32 v6, 0, v1
	v_max_i32_e32 v6, v1, v6
	s_load_dwordx2 s[14:15], s[4:5], 0x30
	s_waitcnt lgkmcnt(0)
	s_cmp_eq_u32 s2, 1
	s_cselect_b64 s[6:7], -1, 0
	s_cmpk_eq_i32 s0, 0x6f
	s_cselect_b64 s[12:13], -1, 0
	s_cmpk_lg_i32 s0, 0x6f
	s_cselect_b64 s[16:17], -1, 0
	s_abs_i32 s0, s11
	v_cvt_f32_u32_e32 v4, s0
	s_sub_i32 s11, 0, s0
	s_cmp_lg_u32 s2, 1
	v_rcp_iflag_f32_e32 v4, v4
	v_mul_f32_e32 v4, 0x4f7ffffe, v4
	v_cvt_u32_f32_e32 v4, v4
	v_mul_lo_u32 v5, s11, v4
	v_mul_hi_u32 v5, v4, v5
	v_add_u32_e32 v4, v4, v5
	v_mul_hi_u32 v4, v6, v4
	v_mul_lo_u32 v4, v4, s0
	v_sub_u32_e32 v4, v6, v4
	v_subrev_u32_e32 v5, s0, v4
	v_cmp_le_u32_e32 vcc, s0, v4
	v_cndmask_b32_e32 v4, v4, v5, vcc
	v_subrev_u32_e32 v5, s0, v4
	v_cmp_le_u32_e32 vcc, s0, v4
	v_cndmask_b32_e32 v4, v4, v5, vcc
	v_xor_b32_e32 v4, v4, v2
	v_sub_u32_e32 v7, v4, v2
	v_ashrrev_i32_e32 v8, 31, v7
	s_cbranch_scc0 .LBB2_11
; %bb.8:
	v_mov_b32_e32 v5, v7
	s_andn2_b64 vcc, exec, s[12:13]
	v_mov_b32_e32 v6, v8
	s_cbranch_vccnz .LBB2_10
; %bb.9:
	v_mul_lo_u32 v4, s15, v7
	v_mul_lo_u32 v12, s14, v8
	v_mad_u64_u32 v[5:6], s[18:19], s14, v7, 0
	v_add3_u32 v6, v6, v12, v4
.LBB2_10:
	s_cbranch_execz .LBB2_12
	s_branch .LBB2_15
.LBB2_11:
                                        ; implicit-def: $vgpr5_vgpr6
.LBB2_12:
	s_andn2_b64 vcc, exec, s[16:17]
	s_cbranch_vccnz .LBB2_14
; %bb.13:
	v_mul_lo_u32 v4, s15, v7
	v_mul_lo_u32 v5, s14, v8
	v_mad_u64_u32 v[7:8], s[16:17], s14, v7, 0
	v_add3_u32 v8, v8, v5, v4
.LBB2_14:
	v_mov_b32_e32 v5, v7
	v_mov_b32_e32 v6, v8
.LBB2_15:
	s_cmp_eq_u32 s3, 1
	s_cselect_b64 s[18:19], -1, 0
	s_cmpk_eq_i32 s1, 0x6f
	s_cselect_b64 s[20:21], -1, 0
	s_cmpk_lg_i32 s1, 0x6f
	s_cselect_b64 s[0:1], -1, 0
	s_cmp_lg_u32 s3, 1
	v_mov_b32_e32 v4, 0
	s_cbranch_scc0 .LBB2_19
; %bb.16:
	v_mov_b32_e32 v8, v4
	s_andn2_b64 vcc, exec, s[0:1]
	v_mov_b32_e32 v7, v3
	s_cbranch_vccnz .LBB2_18
; %bb.17:
	v_mad_u64_u32 v[7:8], s[0:1], s8, v3, 0
	v_mad_u64_u32 v[12:13], s[0:1], s9, v3, v[8:9]
	v_mov_b32_e32 v8, v12
.LBB2_18:
	s_cbranch_execz .LBB2_20
	s_branch .LBB2_23
.LBB2_19:
                                        ; implicit-def: $vgpr7_vgpr8
.LBB2_20:
	s_andn2_b64 vcc, exec, s[20:21]
	s_cbranch_vccnz .LBB2_22
; %bb.21:
	v_mad_u64_u32 v[7:8], s[0:1], s8, v3, 0
	v_mov_b32_e32 v4, v8
	v_mad_u64_u32 v[3:4], s[0:1], s9, v3, v[4:5]
	v_mov_b32_e32 v8, v3
	v_mov_b32_e32 v3, v7
	;; [unrolled: 1-line block ×3, first 2 shown]
.LBB2_22:
	v_mov_b32_e32 v8, v4
	v_mov_b32_e32 v7, v3
.LBB2_23:
	s_load_dwordx2 s[2:3], s[4:5], 0x50
	v_and_b32_e32 v12, 7, v0
	v_cmp_gt_i32_e32 vcc, s10, v12
	v_mov_b32_e32 v13, 0
	s_and_saveexec_b64 s[16:17], vcc
	s_cbranch_execz .LBB2_27
; %bb.24:
	s_xor_b64 s[0:1], s[12:13], s[6:7]
	s_and_b64 s[0:1], s[0:1], exec
	s_cselect_b32 s0, 1, s14
	v_and_b32_e32 v15, 7, v0
	v_mad_u64_u32 v[3:4], s[6:7], s0, v15, 0
	s_cselect_b32 s1, 0, s15
	s_load_dwordx2 s[6:7], s[4:5], 0x28
	s_load_dwordx2 s[12:13], s[4:5], 0x38
	v_mov_b32_e32 v0, v4
	v_mad_u64_u32 v[13:14], s[14:15], s1, v15, v[0:1]
	s_xor_b64 s[4:5], s[20:21], s[18:19]
	s_and_b64 s[4:5], s[4:5], exec
	s_cselect_b32 s8, s8, 1
	v_mov_b32_e32 v4, v13
	v_mad_u64_u32 v[13:14], s[4:5], s8, v15, 0
	v_lshlrev_b64 v[3:4], 1, v[3:4]
	v_lshlrev_b64 v[5:6], 1, v[5:6]
	s_cselect_b32 s9, s9, 0
	v_add_co_u32_e32 v3, vcc, v3, v5
	v_mov_b32_e32 v0, v14
	v_addc_co_u32_e32 v4, vcc, v4, v6, vcc
	v_mad_u64_u32 v[5:6], s[4:5], s9, v15, v[0:1]
	s_waitcnt lgkmcnt(0)
	v_mov_b32_e32 v16, s7
	v_add_co_u32_e32 v3, vcc, s6, v3
	v_mov_b32_e32 v14, v5
	v_lshlrev_b64 v[5:6], 1, v[13:14]
	v_lshlrev_b64 v[7:8], 1, v[7:8]
	v_addc_co_u32_e32 v4, vcc, v16, v4, vcc
	v_add_co_u32_e32 v0, vcc, v5, v7
	v_addc_co_u32_e32 v6, vcc, v6, v8, vcc
	v_mov_b32_e32 v7, s13
	v_add_co_u32_e32 v5, vcc, s12, v0
	s_lshl_b64 s[4:5], s[0:1], 4
	v_addc_co_u32_e32 v6, vcc, v7, v6, vcc
	s_lshl_b64 s[6:7], s[8:9], 4
	v_mov_b32_e32 v13, 0
	s_mov_b64 s[8:9], 0
	v_mov_b32_e32 v0, v12
.LBB2_25:                               ; =>This Inner Loop Header: Depth=1
	global_load_ushort v7, v[3:4], off
	global_load_ushort v8, v[5:6], off
	v_mov_b32_e32 v15, s7
	v_add_co_u32_e32 v5, vcc, s6, v5
	v_add_u32_e32 v0, 8, v0
	v_addc_co_u32_e32 v6, vcc, v6, v15, vcc
	v_mov_b32_e32 v14, s5
	v_add_co_u32_e64 v3, s[0:1], s4, v3
	v_cmp_le_i32_e32 vcc, s10, v0
	v_addc_co_u32_e64 v4, s[0:1], v4, v14, s[0:1]
	s_or_b64 s[8:9], vcc, s[8:9]
	s_waitcnt vmcnt(0)
	v_fma_f16 v13, v7, v8, v13
	s_andn2_b64 exec, exec, s[8:9]
	s_cbranch_execnz .LBB2_25
; %bb.26:
	s_or_b64 exec, exec, s[8:9]
.LBB2_27:
	s_or_b64 exec, exec, s[16:17]
	v_lshlrev_b32_e32 v0, 4, v11
	v_lshl_or_b32 v3, v12, 1, v0
	v_cmp_gt_u32_e32 vcc, 4, v12
	ds_write_b16 v3, v13
	s_waitcnt lgkmcnt(0)
	s_barrier
	s_and_saveexec_b64 s[0:1], vcc
	s_cbranch_execz .LBB2_29
; %bb.28:
	ds_read_u16 v4, v3
	ds_read_u16 v5, v3 offset:8
	s_waitcnt lgkmcnt(0)
	v_add_f16_e32 v4, v5, v4
	ds_write_b16 v3, v4
.LBB2_29:
	s_or_b64 exec, exec, s[0:1]
	v_cmp_gt_u32_e32 vcc, 2, v12
	s_waitcnt lgkmcnt(0)
	s_barrier
	s_and_saveexec_b64 s[0:1], vcc
	s_cbranch_execz .LBB2_31
; %bb.30:
	ds_read_u16 v4, v3
	ds_read_u16 v5, v3 offset:4
	s_waitcnt lgkmcnt(0)
	v_add_f16_e32 v4, v5, v4
	ds_write_b16 v3, v4
.LBB2_31:
	s_or_b64 exec, exec, s[0:1]
	v_cmp_eq_u32_e32 vcc, 0, v12
	s_waitcnt lgkmcnt(0)
	s_barrier
	s_and_saveexec_b64 s[0:1], vcc
	s_cbranch_execz .LBB2_33
; %bb.32:
	ds_read_u16 v4, v3
	ds_read_u16 v5, v3 offset:2
	s_waitcnt lgkmcnt(0)
	v_add_f16_e32 v4, v5, v4
	ds_write_b16 v3, v4
.LBB2_33:
	s_or_b64 exec, exec, s[0:1]
	s_waitcnt lgkmcnt(0)
	s_barrier
	s_and_b64 exec, exec, vcc
	s_cbranch_execz .LBB2_35
; %bb.34:
	v_lshlrev_b64 v[1:2], 1, v[1:2]
	v_mov_b32_e32 v3, s3
	v_add_co_u32_e32 v1, vcc, s2, v1
	v_addc_co_u32_e32 v2, vcc, v3, v2, vcc
	global_load_ushort v3, v[1:2], off
	ds_read_u16 v0, v0
	s_waitcnt lgkmcnt(0)
	v_mul_f16_e32 v0, v9, v0
	s_waitcnt vmcnt(0)
	v_fma_f16 v0, v10, v3, v0
	global_store_short v[1:2], v0, off
.LBB2_35:
	s_endpgm
	.section	.rodata,"a",@progbits
	.p2align	6, 0x0
	.amdhsa_kernel _ZN9rocsparseL16sddmm_ell_kernelILi512ELi8EDF16_iiDF16_DF16_DF16_EEv20rocsparse_operation_S1_16rocsparse_order_S2_T3_S3_S3_T2_NS_24const_host_device_scalarIT1_EEPKT4_lPKT5_lS7_PT6_PKS3_21rocsparse_index_base_b
		.amdhsa_group_segment_fixed_size 1024
		.amdhsa_private_segment_fixed_size 0
		.amdhsa_kernarg_size 104
		.amdhsa_user_sgpr_count 6
		.amdhsa_user_sgpr_private_segment_buffer 1
		.amdhsa_user_sgpr_dispatch_ptr 0
		.amdhsa_user_sgpr_queue_ptr 0
		.amdhsa_user_sgpr_kernarg_segment_ptr 1
		.amdhsa_user_sgpr_dispatch_id 0
		.amdhsa_user_sgpr_flat_scratch_init 0
		.amdhsa_user_sgpr_private_segment_size 0
		.amdhsa_uses_dynamic_stack 0
		.amdhsa_system_sgpr_private_segment_wavefront_offset 0
		.amdhsa_system_sgpr_workgroup_id_x 1
		.amdhsa_system_sgpr_workgroup_id_y 0
		.amdhsa_system_sgpr_workgroup_id_z 0
		.amdhsa_system_sgpr_workgroup_info 0
		.amdhsa_system_vgpr_workitem_id 0
		.amdhsa_next_free_vgpr 17
		.amdhsa_next_free_sgpr 22
		.amdhsa_reserve_vcc 1
		.amdhsa_reserve_flat_scratch 0
		.amdhsa_float_round_mode_32 0
		.amdhsa_float_round_mode_16_64 0
		.amdhsa_float_denorm_mode_32 3
		.amdhsa_float_denorm_mode_16_64 3
		.amdhsa_dx10_clamp 1
		.amdhsa_ieee_mode 1
		.amdhsa_fp16_overflow 0
		.amdhsa_exception_fp_ieee_invalid_op 0
		.amdhsa_exception_fp_denorm_src 0
		.amdhsa_exception_fp_ieee_div_zero 0
		.amdhsa_exception_fp_ieee_overflow 0
		.amdhsa_exception_fp_ieee_underflow 0
		.amdhsa_exception_fp_ieee_inexact 0
		.amdhsa_exception_int_div_zero 0
	.end_amdhsa_kernel
	.section	.text._ZN9rocsparseL16sddmm_ell_kernelILi512ELi8EDF16_iiDF16_DF16_DF16_EEv20rocsparse_operation_S1_16rocsparse_order_S2_T3_S3_S3_T2_NS_24const_host_device_scalarIT1_EEPKT4_lPKT5_lS7_PT6_PKS3_21rocsparse_index_base_b,"axG",@progbits,_ZN9rocsparseL16sddmm_ell_kernelILi512ELi8EDF16_iiDF16_DF16_DF16_EEv20rocsparse_operation_S1_16rocsparse_order_S2_T3_S3_S3_T2_NS_24const_host_device_scalarIT1_EEPKT4_lPKT5_lS7_PT6_PKS3_21rocsparse_index_base_b,comdat
.Lfunc_end2:
	.size	_ZN9rocsparseL16sddmm_ell_kernelILi512ELi8EDF16_iiDF16_DF16_DF16_EEv20rocsparse_operation_S1_16rocsparse_order_S2_T3_S3_S3_T2_NS_24const_host_device_scalarIT1_EEPKT4_lPKT5_lS7_PT6_PKS3_21rocsparse_index_base_b, .Lfunc_end2-_ZN9rocsparseL16sddmm_ell_kernelILi512ELi8EDF16_iiDF16_DF16_DF16_EEv20rocsparse_operation_S1_16rocsparse_order_S2_T3_S3_S3_T2_NS_24const_host_device_scalarIT1_EEPKT4_lPKT5_lS7_PT6_PKS3_21rocsparse_index_base_b
                                        ; -- End function
	.set _ZN9rocsparseL16sddmm_ell_kernelILi512ELi8EDF16_iiDF16_DF16_DF16_EEv20rocsparse_operation_S1_16rocsparse_order_S2_T3_S3_S3_T2_NS_24const_host_device_scalarIT1_EEPKT4_lPKT5_lS7_PT6_PKS3_21rocsparse_index_base_b.num_vgpr, 17
	.set _ZN9rocsparseL16sddmm_ell_kernelILi512ELi8EDF16_iiDF16_DF16_DF16_EEv20rocsparse_operation_S1_16rocsparse_order_S2_T3_S3_S3_T2_NS_24const_host_device_scalarIT1_EEPKT4_lPKT5_lS7_PT6_PKS3_21rocsparse_index_base_b.num_agpr, 0
	.set _ZN9rocsparseL16sddmm_ell_kernelILi512ELi8EDF16_iiDF16_DF16_DF16_EEv20rocsparse_operation_S1_16rocsparse_order_S2_T3_S3_S3_T2_NS_24const_host_device_scalarIT1_EEPKT4_lPKT5_lS7_PT6_PKS3_21rocsparse_index_base_b.numbered_sgpr, 22
	.set _ZN9rocsparseL16sddmm_ell_kernelILi512ELi8EDF16_iiDF16_DF16_DF16_EEv20rocsparse_operation_S1_16rocsparse_order_S2_T3_S3_S3_T2_NS_24const_host_device_scalarIT1_EEPKT4_lPKT5_lS7_PT6_PKS3_21rocsparse_index_base_b.num_named_barrier, 0
	.set _ZN9rocsparseL16sddmm_ell_kernelILi512ELi8EDF16_iiDF16_DF16_DF16_EEv20rocsparse_operation_S1_16rocsparse_order_S2_T3_S3_S3_T2_NS_24const_host_device_scalarIT1_EEPKT4_lPKT5_lS7_PT6_PKS3_21rocsparse_index_base_b.private_seg_size, 0
	.set _ZN9rocsparseL16sddmm_ell_kernelILi512ELi8EDF16_iiDF16_DF16_DF16_EEv20rocsparse_operation_S1_16rocsparse_order_S2_T3_S3_S3_T2_NS_24const_host_device_scalarIT1_EEPKT4_lPKT5_lS7_PT6_PKS3_21rocsparse_index_base_b.uses_vcc, 1
	.set _ZN9rocsparseL16sddmm_ell_kernelILi512ELi8EDF16_iiDF16_DF16_DF16_EEv20rocsparse_operation_S1_16rocsparse_order_S2_T3_S3_S3_T2_NS_24const_host_device_scalarIT1_EEPKT4_lPKT5_lS7_PT6_PKS3_21rocsparse_index_base_b.uses_flat_scratch, 0
	.set _ZN9rocsparseL16sddmm_ell_kernelILi512ELi8EDF16_iiDF16_DF16_DF16_EEv20rocsparse_operation_S1_16rocsparse_order_S2_T3_S3_S3_T2_NS_24const_host_device_scalarIT1_EEPKT4_lPKT5_lS7_PT6_PKS3_21rocsparse_index_base_b.has_dyn_sized_stack, 0
	.set _ZN9rocsparseL16sddmm_ell_kernelILi512ELi8EDF16_iiDF16_DF16_DF16_EEv20rocsparse_operation_S1_16rocsparse_order_S2_T3_S3_S3_T2_NS_24const_host_device_scalarIT1_EEPKT4_lPKT5_lS7_PT6_PKS3_21rocsparse_index_base_b.has_recursion, 0
	.set _ZN9rocsparseL16sddmm_ell_kernelILi512ELi8EDF16_iiDF16_DF16_DF16_EEv20rocsparse_operation_S1_16rocsparse_order_S2_T3_S3_S3_T2_NS_24const_host_device_scalarIT1_EEPKT4_lPKT5_lS7_PT6_PKS3_21rocsparse_index_base_b.has_indirect_call, 0
	.section	.AMDGPU.csdata,"",@progbits
; Kernel info:
; codeLenInByte = 1204
; TotalNumSgprs: 26
; NumVgprs: 17
; ScratchSize: 0
; MemoryBound: 0
; FloatMode: 240
; IeeeMode: 1
; LDSByteSize: 1024 bytes/workgroup (compile time only)
; SGPRBlocks: 3
; VGPRBlocks: 4
; NumSGPRsForWavesPerEU: 26
; NumVGPRsForWavesPerEU: 17
; Occupancy: 10
; WaveLimiterHint : 0
; COMPUTE_PGM_RSRC2:SCRATCH_EN: 0
; COMPUTE_PGM_RSRC2:USER_SGPR: 6
; COMPUTE_PGM_RSRC2:TRAP_HANDLER: 0
; COMPUTE_PGM_RSRC2:TGID_X_EN: 1
; COMPUTE_PGM_RSRC2:TGID_Y_EN: 0
; COMPUTE_PGM_RSRC2:TGID_Z_EN: 0
; COMPUTE_PGM_RSRC2:TIDIG_COMP_CNT: 0
	.section	.text._ZN9rocsparseL16sddmm_ell_kernelILi512ELi4EDF16_iiDF16_DF16_DF16_EEv20rocsparse_operation_S1_16rocsparse_order_S2_T3_S3_S3_T2_NS_24const_host_device_scalarIT1_EEPKT4_lPKT5_lS7_PT6_PKS3_21rocsparse_index_base_b,"axG",@progbits,_ZN9rocsparseL16sddmm_ell_kernelILi512ELi4EDF16_iiDF16_DF16_DF16_EEv20rocsparse_operation_S1_16rocsparse_order_S2_T3_S3_S3_T2_NS_24const_host_device_scalarIT1_EEPKT4_lPKT5_lS7_PT6_PKS3_21rocsparse_index_base_b,comdat
	.globl	_ZN9rocsparseL16sddmm_ell_kernelILi512ELi4EDF16_iiDF16_DF16_DF16_EEv20rocsparse_operation_S1_16rocsparse_order_S2_T3_S3_S3_T2_NS_24const_host_device_scalarIT1_EEPKT4_lPKT5_lS7_PT6_PKS3_21rocsparse_index_base_b ; -- Begin function _ZN9rocsparseL16sddmm_ell_kernelILi512ELi4EDF16_iiDF16_DF16_DF16_EEv20rocsparse_operation_S1_16rocsparse_order_S2_T3_S3_S3_T2_NS_24const_host_device_scalarIT1_EEPKT4_lPKT5_lS7_PT6_PKS3_21rocsparse_index_base_b
	.p2align	8
	.type	_ZN9rocsparseL16sddmm_ell_kernelILi512ELi4EDF16_iiDF16_DF16_DF16_EEv20rocsparse_operation_S1_16rocsparse_order_S2_T3_S3_S3_T2_NS_24const_host_device_scalarIT1_EEPKT4_lPKT5_lS7_PT6_PKS3_21rocsparse_index_base_b,@function
_ZN9rocsparseL16sddmm_ell_kernelILi512ELi4EDF16_iiDF16_DF16_DF16_EEv20rocsparse_operation_S1_16rocsparse_order_S2_T3_S3_S3_T2_NS_24const_host_device_scalarIT1_EEPKT4_lPKT5_lS7_PT6_PKS3_21rocsparse_index_base_b: ; @_ZN9rocsparseL16sddmm_ell_kernelILi512ELi4EDF16_iiDF16_DF16_DF16_EEv20rocsparse_operation_S1_16rocsparse_order_S2_T3_S3_S3_T2_NS_24const_host_device_scalarIT1_EEPKT4_lPKT5_lS7_PT6_PKS3_21rocsparse_index_base_b
; %bb.0:
	s_load_dwordx2 s[2:3], s[4:5], 0x60
	s_load_dwordx2 s[12:13], s[4:5], 0x20
	s_load_dwordx4 s[8:11], s[4:5], 0x40
	s_waitcnt lgkmcnt(0)
	s_bitcmp1_b32 s3, 0
	s_cselect_b64 s[14:15], -1, 0
	s_xor_b64 s[0:1], s[14:15], -1
	s_and_b64 vcc, exec, s[14:15]
	v_mov_b32_e32 v9, s12
	s_cbranch_vccnz .LBB3_2
; %bb.1:
	v_mov_b32_e32 v1, 0
	global_load_ushort v9, v1, s[12:13]
.LBB3_2:
	s_andn2_b64 vcc, exec, s[0:1]
	v_mov_b32_e32 v10, s10
	s_cbranch_vccnz .LBB3_4
; %bb.3:
	v_mov_b32_e32 v1, 0
	global_load_ushort v10, v1, s[10:11]
.LBB3_4:
	s_waitcnt vmcnt(0)
	v_cmp_eq_f16_e32 vcc, 0, v9
	v_cmp_eq_f16_e64 s[0:1], 1.0, v10
	s_and_b64 s[0:1], vcc, s[0:1]
	s_and_b64 vcc, exec, s[0:1]
	s_cbranch_vccnz .LBB3_33
; %bb.5:
	s_load_dwordx2 s[10:11], s[4:5], 0x18
	v_lshrrev_b32_e32 v11, 2, v0
	v_lshl_or_b32 v1, s6, 7, v11
	s_waitcnt lgkmcnt(0)
	v_cmp_gt_i32_e32 vcc, s11, v1
	s_and_saveexec_b64 s[0:1], vcc
	s_cbranch_execz .LBB3_33
; %bb.6:
	s_load_dwordx2 s[0:1], s[4:5], 0x58
	v_ashrrev_i32_e32 v2, 31, v1
	v_lshlrev_b64 v[3:4], 2, v[1:2]
	s_waitcnt lgkmcnt(0)
	v_mov_b32_e32 v5, s1
	v_add_co_u32_e32 v3, vcc, s0, v3
	v_addc_co_u32_e32 v4, vcc, v5, v4, vcc
	global_load_dword v3, v[3:4], off
	s_waitcnt vmcnt(0)
	v_subrev_u32_e32 v3, s2, v3
	v_cmp_lt_i32_e32 vcc, -1, v3
	s_and_b64 exec, exec, vcc
	s_cbranch_execz .LBB3_33
; %bb.7:
	s_load_dwordx4 s[0:3], s[4:5], 0x0
	s_load_dword s11, s[4:5], 0x10
	v_sub_u32_e32 v6, 0, v1
	v_max_i32_e32 v6, v1, v6
	s_load_dwordx2 s[14:15], s[4:5], 0x30
	s_waitcnt lgkmcnt(0)
	s_cmp_eq_u32 s2, 1
	s_cselect_b64 s[6:7], -1, 0
	s_cmpk_eq_i32 s0, 0x6f
	s_cselect_b64 s[12:13], -1, 0
	s_cmpk_lg_i32 s0, 0x6f
	s_cselect_b64 s[16:17], -1, 0
	s_abs_i32 s0, s11
	v_cvt_f32_u32_e32 v4, s0
	s_sub_i32 s11, 0, s0
	s_cmp_lg_u32 s2, 1
	v_rcp_iflag_f32_e32 v4, v4
	v_mul_f32_e32 v4, 0x4f7ffffe, v4
	v_cvt_u32_f32_e32 v4, v4
	v_mul_lo_u32 v5, s11, v4
	v_mul_hi_u32 v5, v4, v5
	v_add_u32_e32 v4, v4, v5
	v_mul_hi_u32 v4, v6, v4
	v_mul_lo_u32 v4, v4, s0
	v_sub_u32_e32 v4, v6, v4
	v_subrev_u32_e32 v5, s0, v4
	v_cmp_le_u32_e32 vcc, s0, v4
	v_cndmask_b32_e32 v4, v4, v5, vcc
	v_subrev_u32_e32 v5, s0, v4
	v_cmp_le_u32_e32 vcc, s0, v4
	v_cndmask_b32_e32 v4, v4, v5, vcc
	v_xor_b32_e32 v4, v4, v2
	v_sub_u32_e32 v7, v4, v2
	v_ashrrev_i32_e32 v8, 31, v7
	s_cbranch_scc0 .LBB3_11
; %bb.8:
	v_mov_b32_e32 v5, v7
	s_andn2_b64 vcc, exec, s[12:13]
	v_mov_b32_e32 v6, v8
	s_cbranch_vccnz .LBB3_10
; %bb.9:
	v_mul_lo_u32 v4, s15, v7
	v_mul_lo_u32 v12, s14, v8
	v_mad_u64_u32 v[5:6], s[18:19], s14, v7, 0
	v_add3_u32 v6, v6, v12, v4
.LBB3_10:
	s_cbranch_execz .LBB3_12
	s_branch .LBB3_15
.LBB3_11:
                                        ; implicit-def: $vgpr5_vgpr6
.LBB3_12:
	s_andn2_b64 vcc, exec, s[16:17]
	s_cbranch_vccnz .LBB3_14
; %bb.13:
	v_mul_lo_u32 v4, s15, v7
	v_mul_lo_u32 v5, s14, v8
	v_mad_u64_u32 v[7:8], s[16:17], s14, v7, 0
	v_add3_u32 v8, v8, v5, v4
.LBB3_14:
	v_mov_b32_e32 v5, v7
	v_mov_b32_e32 v6, v8
.LBB3_15:
	s_cmp_eq_u32 s3, 1
	s_cselect_b64 s[18:19], -1, 0
	s_cmpk_eq_i32 s1, 0x6f
	s_cselect_b64 s[20:21], -1, 0
	s_cmpk_lg_i32 s1, 0x6f
	s_cselect_b64 s[0:1], -1, 0
	s_cmp_lg_u32 s3, 1
	v_mov_b32_e32 v4, 0
	s_cbranch_scc0 .LBB3_19
; %bb.16:
	v_mov_b32_e32 v8, v4
	s_andn2_b64 vcc, exec, s[0:1]
	v_mov_b32_e32 v7, v3
	s_cbranch_vccnz .LBB3_18
; %bb.17:
	v_mad_u64_u32 v[7:8], s[0:1], s8, v3, 0
	v_mad_u64_u32 v[12:13], s[0:1], s9, v3, v[8:9]
	v_mov_b32_e32 v8, v12
.LBB3_18:
	s_cbranch_execz .LBB3_20
	s_branch .LBB3_23
.LBB3_19:
                                        ; implicit-def: $vgpr7_vgpr8
.LBB3_20:
	s_andn2_b64 vcc, exec, s[20:21]
	s_cbranch_vccnz .LBB3_22
; %bb.21:
	v_mad_u64_u32 v[7:8], s[0:1], s8, v3, 0
	v_mov_b32_e32 v4, v8
	v_mad_u64_u32 v[3:4], s[0:1], s9, v3, v[4:5]
	v_mov_b32_e32 v8, v3
	v_mov_b32_e32 v3, v7
	;; [unrolled: 1-line block ×3, first 2 shown]
.LBB3_22:
	v_mov_b32_e32 v8, v4
	v_mov_b32_e32 v7, v3
.LBB3_23:
	s_load_dwordx2 s[2:3], s[4:5], 0x50
	v_and_b32_e32 v12, 3, v0
	v_cmp_gt_i32_e32 vcc, s10, v12
	v_mov_b32_e32 v13, 0
	s_and_saveexec_b64 s[16:17], vcc
	s_cbranch_execz .LBB3_27
; %bb.24:
	s_xor_b64 s[0:1], s[12:13], s[6:7]
	s_and_b64 s[0:1], s[0:1], exec
	s_cselect_b32 s0, 1, s14
	v_and_b32_e32 v15, 3, v0
	v_mad_u64_u32 v[3:4], s[6:7], s0, v15, 0
	s_cselect_b32 s1, 0, s15
	s_load_dwordx2 s[6:7], s[4:5], 0x28
	s_load_dwordx2 s[12:13], s[4:5], 0x38
	v_mov_b32_e32 v0, v4
	v_mad_u64_u32 v[13:14], s[14:15], s1, v15, v[0:1]
	s_xor_b64 s[4:5], s[20:21], s[18:19]
	s_and_b64 s[4:5], s[4:5], exec
	s_cselect_b32 s8, s8, 1
	v_mov_b32_e32 v4, v13
	v_mad_u64_u32 v[13:14], s[4:5], s8, v15, 0
	v_lshlrev_b64 v[3:4], 1, v[3:4]
	v_lshlrev_b64 v[5:6], 1, v[5:6]
	s_cselect_b32 s9, s9, 0
	v_add_co_u32_e32 v3, vcc, v3, v5
	v_mov_b32_e32 v0, v14
	v_addc_co_u32_e32 v4, vcc, v4, v6, vcc
	v_mad_u64_u32 v[5:6], s[4:5], s9, v15, v[0:1]
	s_waitcnt lgkmcnt(0)
	v_mov_b32_e32 v16, s7
	v_add_co_u32_e32 v3, vcc, s6, v3
	v_mov_b32_e32 v14, v5
	v_lshlrev_b64 v[5:6], 1, v[13:14]
	v_lshlrev_b64 v[7:8], 1, v[7:8]
	v_addc_co_u32_e32 v4, vcc, v16, v4, vcc
	v_add_co_u32_e32 v0, vcc, v5, v7
	v_addc_co_u32_e32 v6, vcc, v6, v8, vcc
	v_mov_b32_e32 v7, s13
	v_add_co_u32_e32 v5, vcc, s12, v0
	s_lshl_b64 s[4:5], s[0:1], 3
	v_addc_co_u32_e32 v6, vcc, v7, v6, vcc
	s_lshl_b64 s[6:7], s[8:9], 3
	v_mov_b32_e32 v13, 0
	s_mov_b64 s[8:9], 0
	v_mov_b32_e32 v0, v12
.LBB3_25:                               ; =>This Inner Loop Header: Depth=1
	global_load_ushort v7, v[3:4], off
	global_load_ushort v8, v[5:6], off
	v_mov_b32_e32 v15, s7
	v_add_co_u32_e32 v5, vcc, s6, v5
	v_add_u32_e32 v0, 4, v0
	v_addc_co_u32_e32 v6, vcc, v6, v15, vcc
	v_mov_b32_e32 v14, s5
	v_add_co_u32_e64 v3, s[0:1], s4, v3
	v_cmp_le_i32_e32 vcc, s10, v0
	v_addc_co_u32_e64 v4, s[0:1], v4, v14, s[0:1]
	s_or_b64 s[8:9], vcc, s[8:9]
	s_waitcnt vmcnt(0)
	v_fma_f16 v13, v7, v8, v13
	s_andn2_b64 exec, exec, s[8:9]
	s_cbranch_execnz .LBB3_25
; %bb.26:
	s_or_b64 exec, exec, s[8:9]
.LBB3_27:
	s_or_b64 exec, exec, s[16:17]
	v_lshlrev_b32_e32 v0, 3, v11
	v_lshl_or_b32 v3, v12, 1, v0
	v_cmp_gt_u32_e32 vcc, 2, v12
	ds_write_b16 v3, v13
	s_waitcnt lgkmcnt(0)
	s_barrier
	s_and_saveexec_b64 s[0:1], vcc
	s_cbranch_execz .LBB3_29
; %bb.28:
	ds_read_u16 v4, v3
	ds_read_u16 v5, v3 offset:4
	s_waitcnt lgkmcnt(0)
	v_add_f16_e32 v4, v5, v4
	ds_write_b16 v3, v4
.LBB3_29:
	s_or_b64 exec, exec, s[0:1]
	v_cmp_eq_u32_e32 vcc, 0, v12
	s_waitcnt lgkmcnt(0)
	s_barrier
	s_and_saveexec_b64 s[0:1], vcc
	s_cbranch_execz .LBB3_31
; %bb.30:
	ds_read_u16 v4, v3
	ds_read_u16 v5, v3 offset:2
	s_waitcnt lgkmcnt(0)
	v_add_f16_e32 v4, v5, v4
	ds_write_b16 v3, v4
.LBB3_31:
	s_or_b64 exec, exec, s[0:1]
	s_waitcnt lgkmcnt(0)
	s_barrier
	s_and_b64 exec, exec, vcc
	s_cbranch_execz .LBB3_33
; %bb.32:
	v_lshlrev_b64 v[1:2], 1, v[1:2]
	v_mov_b32_e32 v3, s3
	v_add_co_u32_e32 v1, vcc, s2, v1
	v_addc_co_u32_e32 v2, vcc, v3, v2, vcc
	global_load_ushort v3, v[1:2], off
	ds_read_u16 v0, v0
	s_waitcnt lgkmcnt(0)
	v_mul_f16_e32 v0, v9, v0
	s_waitcnt vmcnt(0)
	v_fma_f16 v0, v10, v3, v0
	global_store_short v[1:2], v0, off
.LBB3_33:
	s_endpgm
	.section	.rodata,"a",@progbits
	.p2align	6, 0x0
	.amdhsa_kernel _ZN9rocsparseL16sddmm_ell_kernelILi512ELi4EDF16_iiDF16_DF16_DF16_EEv20rocsparse_operation_S1_16rocsparse_order_S2_T3_S3_S3_T2_NS_24const_host_device_scalarIT1_EEPKT4_lPKT5_lS7_PT6_PKS3_21rocsparse_index_base_b
		.amdhsa_group_segment_fixed_size 1024
		.amdhsa_private_segment_fixed_size 0
		.amdhsa_kernarg_size 104
		.amdhsa_user_sgpr_count 6
		.amdhsa_user_sgpr_private_segment_buffer 1
		.amdhsa_user_sgpr_dispatch_ptr 0
		.amdhsa_user_sgpr_queue_ptr 0
		.amdhsa_user_sgpr_kernarg_segment_ptr 1
		.amdhsa_user_sgpr_dispatch_id 0
		.amdhsa_user_sgpr_flat_scratch_init 0
		.amdhsa_user_sgpr_private_segment_size 0
		.amdhsa_uses_dynamic_stack 0
		.amdhsa_system_sgpr_private_segment_wavefront_offset 0
		.amdhsa_system_sgpr_workgroup_id_x 1
		.amdhsa_system_sgpr_workgroup_id_y 0
		.amdhsa_system_sgpr_workgroup_id_z 0
		.amdhsa_system_sgpr_workgroup_info 0
		.amdhsa_system_vgpr_workitem_id 0
		.amdhsa_next_free_vgpr 17
		.amdhsa_next_free_sgpr 22
		.amdhsa_reserve_vcc 1
		.amdhsa_reserve_flat_scratch 0
		.amdhsa_float_round_mode_32 0
		.amdhsa_float_round_mode_16_64 0
		.amdhsa_float_denorm_mode_32 3
		.amdhsa_float_denorm_mode_16_64 3
		.amdhsa_dx10_clamp 1
		.amdhsa_ieee_mode 1
		.amdhsa_fp16_overflow 0
		.amdhsa_exception_fp_ieee_invalid_op 0
		.amdhsa_exception_fp_denorm_src 0
		.amdhsa_exception_fp_ieee_div_zero 0
		.amdhsa_exception_fp_ieee_overflow 0
		.amdhsa_exception_fp_ieee_underflow 0
		.amdhsa_exception_fp_ieee_inexact 0
		.amdhsa_exception_int_div_zero 0
	.end_amdhsa_kernel
	.section	.text._ZN9rocsparseL16sddmm_ell_kernelILi512ELi4EDF16_iiDF16_DF16_DF16_EEv20rocsparse_operation_S1_16rocsparse_order_S2_T3_S3_S3_T2_NS_24const_host_device_scalarIT1_EEPKT4_lPKT5_lS7_PT6_PKS3_21rocsparse_index_base_b,"axG",@progbits,_ZN9rocsparseL16sddmm_ell_kernelILi512ELi4EDF16_iiDF16_DF16_DF16_EEv20rocsparse_operation_S1_16rocsparse_order_S2_T3_S3_S3_T2_NS_24const_host_device_scalarIT1_EEPKT4_lPKT5_lS7_PT6_PKS3_21rocsparse_index_base_b,comdat
.Lfunc_end3:
	.size	_ZN9rocsparseL16sddmm_ell_kernelILi512ELi4EDF16_iiDF16_DF16_DF16_EEv20rocsparse_operation_S1_16rocsparse_order_S2_T3_S3_S3_T2_NS_24const_host_device_scalarIT1_EEPKT4_lPKT5_lS7_PT6_PKS3_21rocsparse_index_base_b, .Lfunc_end3-_ZN9rocsparseL16sddmm_ell_kernelILi512ELi4EDF16_iiDF16_DF16_DF16_EEv20rocsparse_operation_S1_16rocsparse_order_S2_T3_S3_S3_T2_NS_24const_host_device_scalarIT1_EEPKT4_lPKT5_lS7_PT6_PKS3_21rocsparse_index_base_b
                                        ; -- End function
	.set _ZN9rocsparseL16sddmm_ell_kernelILi512ELi4EDF16_iiDF16_DF16_DF16_EEv20rocsparse_operation_S1_16rocsparse_order_S2_T3_S3_S3_T2_NS_24const_host_device_scalarIT1_EEPKT4_lPKT5_lS7_PT6_PKS3_21rocsparse_index_base_b.num_vgpr, 17
	.set _ZN9rocsparseL16sddmm_ell_kernelILi512ELi4EDF16_iiDF16_DF16_DF16_EEv20rocsparse_operation_S1_16rocsparse_order_S2_T3_S3_S3_T2_NS_24const_host_device_scalarIT1_EEPKT4_lPKT5_lS7_PT6_PKS3_21rocsparse_index_base_b.num_agpr, 0
	.set _ZN9rocsparseL16sddmm_ell_kernelILi512ELi4EDF16_iiDF16_DF16_DF16_EEv20rocsparse_operation_S1_16rocsparse_order_S2_T3_S3_S3_T2_NS_24const_host_device_scalarIT1_EEPKT4_lPKT5_lS7_PT6_PKS3_21rocsparse_index_base_b.numbered_sgpr, 22
	.set _ZN9rocsparseL16sddmm_ell_kernelILi512ELi4EDF16_iiDF16_DF16_DF16_EEv20rocsparse_operation_S1_16rocsparse_order_S2_T3_S3_S3_T2_NS_24const_host_device_scalarIT1_EEPKT4_lPKT5_lS7_PT6_PKS3_21rocsparse_index_base_b.num_named_barrier, 0
	.set _ZN9rocsparseL16sddmm_ell_kernelILi512ELi4EDF16_iiDF16_DF16_DF16_EEv20rocsparse_operation_S1_16rocsparse_order_S2_T3_S3_S3_T2_NS_24const_host_device_scalarIT1_EEPKT4_lPKT5_lS7_PT6_PKS3_21rocsparse_index_base_b.private_seg_size, 0
	.set _ZN9rocsparseL16sddmm_ell_kernelILi512ELi4EDF16_iiDF16_DF16_DF16_EEv20rocsparse_operation_S1_16rocsparse_order_S2_T3_S3_S3_T2_NS_24const_host_device_scalarIT1_EEPKT4_lPKT5_lS7_PT6_PKS3_21rocsparse_index_base_b.uses_vcc, 1
	.set _ZN9rocsparseL16sddmm_ell_kernelILi512ELi4EDF16_iiDF16_DF16_DF16_EEv20rocsparse_operation_S1_16rocsparse_order_S2_T3_S3_S3_T2_NS_24const_host_device_scalarIT1_EEPKT4_lPKT5_lS7_PT6_PKS3_21rocsparse_index_base_b.uses_flat_scratch, 0
	.set _ZN9rocsparseL16sddmm_ell_kernelILi512ELi4EDF16_iiDF16_DF16_DF16_EEv20rocsparse_operation_S1_16rocsparse_order_S2_T3_S3_S3_T2_NS_24const_host_device_scalarIT1_EEPKT4_lPKT5_lS7_PT6_PKS3_21rocsparse_index_base_b.has_dyn_sized_stack, 0
	.set _ZN9rocsparseL16sddmm_ell_kernelILi512ELi4EDF16_iiDF16_DF16_DF16_EEv20rocsparse_operation_S1_16rocsparse_order_S2_T3_S3_S3_T2_NS_24const_host_device_scalarIT1_EEPKT4_lPKT5_lS7_PT6_PKS3_21rocsparse_index_base_b.has_recursion, 0
	.set _ZN9rocsparseL16sddmm_ell_kernelILi512ELi4EDF16_iiDF16_DF16_DF16_EEv20rocsparse_operation_S1_16rocsparse_order_S2_T3_S3_S3_T2_NS_24const_host_device_scalarIT1_EEPKT4_lPKT5_lS7_PT6_PKS3_21rocsparse_index_base_b.has_indirect_call, 0
	.section	.AMDGPU.csdata,"",@progbits
; Kernel info:
; codeLenInByte = 1148
; TotalNumSgprs: 26
; NumVgprs: 17
; ScratchSize: 0
; MemoryBound: 0
; FloatMode: 240
; IeeeMode: 1
; LDSByteSize: 1024 bytes/workgroup (compile time only)
; SGPRBlocks: 3
; VGPRBlocks: 4
; NumSGPRsForWavesPerEU: 26
; NumVGPRsForWavesPerEU: 17
; Occupancy: 10
; WaveLimiterHint : 0
; COMPUTE_PGM_RSRC2:SCRATCH_EN: 0
; COMPUTE_PGM_RSRC2:USER_SGPR: 6
; COMPUTE_PGM_RSRC2:TRAP_HANDLER: 0
; COMPUTE_PGM_RSRC2:TGID_X_EN: 1
; COMPUTE_PGM_RSRC2:TGID_Y_EN: 0
; COMPUTE_PGM_RSRC2:TGID_Z_EN: 0
; COMPUTE_PGM_RSRC2:TIDIG_COMP_CNT: 0
	.section	.text._ZN9rocsparseL16sddmm_ell_kernelILi512ELi2EDF16_iiDF16_DF16_DF16_EEv20rocsparse_operation_S1_16rocsparse_order_S2_T3_S3_S3_T2_NS_24const_host_device_scalarIT1_EEPKT4_lPKT5_lS7_PT6_PKS3_21rocsparse_index_base_b,"axG",@progbits,_ZN9rocsparseL16sddmm_ell_kernelILi512ELi2EDF16_iiDF16_DF16_DF16_EEv20rocsparse_operation_S1_16rocsparse_order_S2_T3_S3_S3_T2_NS_24const_host_device_scalarIT1_EEPKT4_lPKT5_lS7_PT6_PKS3_21rocsparse_index_base_b,comdat
	.globl	_ZN9rocsparseL16sddmm_ell_kernelILi512ELi2EDF16_iiDF16_DF16_DF16_EEv20rocsparse_operation_S1_16rocsparse_order_S2_T3_S3_S3_T2_NS_24const_host_device_scalarIT1_EEPKT4_lPKT5_lS7_PT6_PKS3_21rocsparse_index_base_b ; -- Begin function _ZN9rocsparseL16sddmm_ell_kernelILi512ELi2EDF16_iiDF16_DF16_DF16_EEv20rocsparse_operation_S1_16rocsparse_order_S2_T3_S3_S3_T2_NS_24const_host_device_scalarIT1_EEPKT4_lPKT5_lS7_PT6_PKS3_21rocsparse_index_base_b
	.p2align	8
	.type	_ZN9rocsparseL16sddmm_ell_kernelILi512ELi2EDF16_iiDF16_DF16_DF16_EEv20rocsparse_operation_S1_16rocsparse_order_S2_T3_S3_S3_T2_NS_24const_host_device_scalarIT1_EEPKT4_lPKT5_lS7_PT6_PKS3_21rocsparse_index_base_b,@function
_ZN9rocsparseL16sddmm_ell_kernelILi512ELi2EDF16_iiDF16_DF16_DF16_EEv20rocsparse_operation_S1_16rocsparse_order_S2_T3_S3_S3_T2_NS_24const_host_device_scalarIT1_EEPKT4_lPKT5_lS7_PT6_PKS3_21rocsparse_index_base_b: ; @_ZN9rocsparseL16sddmm_ell_kernelILi512ELi2EDF16_iiDF16_DF16_DF16_EEv20rocsparse_operation_S1_16rocsparse_order_S2_T3_S3_S3_T2_NS_24const_host_device_scalarIT1_EEPKT4_lPKT5_lS7_PT6_PKS3_21rocsparse_index_base_b
; %bb.0:
	s_load_dwordx2 s[2:3], s[4:5], 0x60
	s_load_dwordx2 s[12:13], s[4:5], 0x20
	s_load_dwordx4 s[8:11], s[4:5], 0x40
	s_waitcnt lgkmcnt(0)
	s_bitcmp1_b32 s3, 0
	s_cselect_b64 s[14:15], -1, 0
	s_xor_b64 s[0:1], s[14:15], -1
	s_and_b64 vcc, exec, s[14:15]
	v_mov_b32_e32 v9, s12
	s_cbranch_vccnz .LBB4_2
; %bb.1:
	v_mov_b32_e32 v1, 0
	global_load_ushort v9, v1, s[12:13]
.LBB4_2:
	s_andn2_b64 vcc, exec, s[0:1]
	v_mov_b32_e32 v10, s10
	s_cbranch_vccnz .LBB4_4
; %bb.3:
	v_mov_b32_e32 v1, 0
	global_load_ushort v10, v1, s[10:11]
.LBB4_4:
	s_waitcnt vmcnt(0)
	v_cmp_eq_f16_e32 vcc, 0, v9
	v_cmp_eq_f16_e64 s[0:1], 1.0, v10
	s_and_b64 s[0:1], vcc, s[0:1]
	s_and_b64 vcc, exec, s[0:1]
	s_cbranch_vccnz .LBB4_31
; %bb.5:
	s_load_dwordx2 s[10:11], s[4:5], 0x18
	v_lshrrev_b32_e32 v11, 1, v0
	v_lshl_or_b32 v1, s6, 8, v11
	s_waitcnt lgkmcnt(0)
	v_cmp_gt_i32_e32 vcc, s11, v1
	s_and_saveexec_b64 s[0:1], vcc
	s_cbranch_execz .LBB4_31
; %bb.6:
	s_load_dwordx2 s[0:1], s[4:5], 0x58
	v_ashrrev_i32_e32 v2, 31, v1
	v_lshlrev_b64 v[3:4], 2, v[1:2]
	s_waitcnt lgkmcnt(0)
	v_mov_b32_e32 v5, s1
	v_add_co_u32_e32 v3, vcc, s0, v3
	v_addc_co_u32_e32 v4, vcc, v5, v4, vcc
	global_load_dword v3, v[3:4], off
	s_waitcnt vmcnt(0)
	v_subrev_u32_e32 v3, s2, v3
	v_cmp_lt_i32_e32 vcc, -1, v3
	s_and_b64 exec, exec, vcc
	s_cbranch_execz .LBB4_31
; %bb.7:
	s_load_dwordx4 s[0:3], s[4:5], 0x0
	s_load_dword s11, s[4:5], 0x10
	v_sub_u32_e32 v6, 0, v1
	v_max_i32_e32 v6, v1, v6
	s_load_dwordx2 s[14:15], s[4:5], 0x30
	s_waitcnt lgkmcnt(0)
	s_cmp_eq_u32 s2, 1
	s_cselect_b64 s[6:7], -1, 0
	s_cmpk_eq_i32 s0, 0x6f
	s_cselect_b64 s[12:13], -1, 0
	s_cmpk_lg_i32 s0, 0x6f
	s_cselect_b64 s[16:17], -1, 0
	s_abs_i32 s0, s11
	v_cvt_f32_u32_e32 v4, s0
	s_sub_i32 s11, 0, s0
	s_cmp_lg_u32 s2, 1
	v_rcp_iflag_f32_e32 v4, v4
	v_mul_f32_e32 v4, 0x4f7ffffe, v4
	v_cvt_u32_f32_e32 v4, v4
	v_mul_lo_u32 v5, s11, v4
	v_mul_hi_u32 v5, v4, v5
	v_add_u32_e32 v4, v4, v5
	v_mul_hi_u32 v4, v6, v4
	v_mul_lo_u32 v4, v4, s0
	v_sub_u32_e32 v4, v6, v4
	v_subrev_u32_e32 v5, s0, v4
	v_cmp_le_u32_e32 vcc, s0, v4
	v_cndmask_b32_e32 v4, v4, v5, vcc
	v_subrev_u32_e32 v5, s0, v4
	v_cmp_le_u32_e32 vcc, s0, v4
	v_cndmask_b32_e32 v4, v4, v5, vcc
	v_xor_b32_e32 v4, v4, v2
	v_sub_u32_e32 v7, v4, v2
	v_ashrrev_i32_e32 v8, 31, v7
	s_cbranch_scc0 .LBB4_11
; %bb.8:
	v_mov_b32_e32 v5, v7
	s_andn2_b64 vcc, exec, s[12:13]
	v_mov_b32_e32 v6, v8
	s_cbranch_vccnz .LBB4_10
; %bb.9:
	v_mul_lo_u32 v4, s15, v7
	v_mul_lo_u32 v12, s14, v8
	v_mad_u64_u32 v[5:6], s[18:19], s14, v7, 0
	v_add3_u32 v6, v6, v12, v4
.LBB4_10:
	s_cbranch_execz .LBB4_12
	s_branch .LBB4_15
.LBB4_11:
                                        ; implicit-def: $vgpr5_vgpr6
.LBB4_12:
	s_andn2_b64 vcc, exec, s[16:17]
	s_cbranch_vccnz .LBB4_14
; %bb.13:
	v_mul_lo_u32 v4, s15, v7
	v_mul_lo_u32 v5, s14, v8
	v_mad_u64_u32 v[7:8], s[16:17], s14, v7, 0
	v_add3_u32 v8, v8, v5, v4
.LBB4_14:
	v_mov_b32_e32 v5, v7
	v_mov_b32_e32 v6, v8
.LBB4_15:
	s_cmp_eq_u32 s3, 1
	s_cselect_b64 s[16:17], -1, 0
	s_cmpk_eq_i32 s1, 0x6f
	s_cselect_b64 s[18:19], -1, 0
	s_cmpk_lg_i32 s1, 0x6f
	s_cselect_b64 s[0:1], -1, 0
	s_cmp_lg_u32 s3, 1
	v_mov_b32_e32 v4, 0
	s_cbranch_scc0 .LBB4_19
; %bb.16:
	v_mov_b32_e32 v8, v4
	s_andn2_b64 vcc, exec, s[0:1]
	v_mov_b32_e32 v7, v3
	s_cbranch_vccnz .LBB4_18
; %bb.17:
	v_mad_u64_u32 v[7:8], s[0:1], s8, v3, 0
	v_mad_u64_u32 v[12:13], s[0:1], s9, v3, v[8:9]
	v_mov_b32_e32 v8, v12
.LBB4_18:
	s_cbranch_execz .LBB4_20
	s_branch .LBB4_23
.LBB4_19:
                                        ; implicit-def: $vgpr7_vgpr8
.LBB4_20:
	s_andn2_b64 vcc, exec, s[18:19]
	s_cbranch_vccnz .LBB4_22
; %bb.21:
	v_mad_u64_u32 v[7:8], s[0:1], s8, v3, 0
	v_mov_b32_e32 v4, v8
	v_mad_u64_u32 v[3:4], s[0:1], s9, v3, v[4:5]
	v_mov_b32_e32 v8, v3
	v_mov_b32_e32 v3, v7
	v_mov_b32_e32 v4, v8
.LBB4_22:
	v_mov_b32_e32 v8, v4
	v_mov_b32_e32 v7, v3
.LBB4_23:
	s_load_dwordx2 s[0:1], s[4:5], 0x50
	v_and_b32_e32 v12, 1, v0
	v_cmp_gt_i32_e32 vcc, s10, v12
	v_mov_b32_e32 v13, 0
	s_and_saveexec_b64 s[2:3], vcc
	s_cbranch_execz .LBB4_27
; %bb.24:
	s_load_dwordx2 s[20:21], s[4:5], 0x28
	s_load_dwordx2 s[22:23], s[4:5], 0x38
	s_xor_b64 s[4:5], s[12:13], s[6:7]
	s_and_b64 s[4:5], s[4:5], exec
	s_cselect_b32 s5, 0, s15
	s_cselect_b32 s4, 1, s14
	v_and_b32_e32 v0, 1, v0
	v_mul_lo_u32 v4, s5, v0
	v_mul_lo_u32 v3, s4, v0
	s_xor_b64 s[6:7], s[18:19], s[16:17]
	v_lshlrev_b64 v[5:6], 1, v[5:6]
	s_and_b64 s[6:7], s[6:7], exec
	v_lshlrev_b64 v[3:4], 1, v[3:4]
	s_cselect_b32 s7, s9, 0
	s_cselect_b32 s6, s8, 1
	v_add_co_u32_e32 v3, vcc, v3, v5
	v_addc_co_u32_e32 v4, vcc, v4, v6, vcc
	v_mul_lo_u32 v6, s7, v0
	v_mul_lo_u32 v5, s6, v0
	s_waitcnt lgkmcnt(0)
	v_mov_b32_e32 v13, s21
	v_add_co_u32_e32 v3, vcc, s20, v3
	v_lshlrev_b64 v[5:6], 1, v[5:6]
	v_lshlrev_b64 v[7:8], 1, v[7:8]
	v_addc_co_u32_e32 v4, vcc, v13, v4, vcc
	v_add_co_u32_e32 v0, vcc, v5, v7
	v_addc_co_u32_e32 v6, vcc, v6, v8, vcc
	s_lshl_b64 s[4:5], s[4:5], 2
	v_mov_b32_e32 v7, s23
	v_add_co_u32_e32 v5, vcc, s22, v0
	s_lshl_b64 s[6:7], s[6:7], 2
	v_addc_co_u32_e32 v6, vcc, v7, v6, vcc
	v_mov_b32_e32 v13, 0
	s_mov_b64 s[8:9], 0
	v_mov_b32_e32 v0, s5
	v_mov_b32_e32 v7, s7
	v_mov_b32_e32 v8, v12
.LBB4_25:                               ; =>This Inner Loop Header: Depth=1
	global_load_ushort v14, v[3:4], off
	global_load_ushort v15, v[5:6], off
	v_add_co_u32_e32 v3, vcc, s4, v3
	v_addc_co_u32_e32 v4, vcc, v4, v0, vcc
	v_add_co_u32_e32 v5, vcc, s6, v5
	v_add_u32_e32 v8, 2, v8
	v_addc_co_u32_e32 v6, vcc, v6, v7, vcc
	v_cmp_le_i32_e32 vcc, s10, v8
	s_or_b64 s[8:9], vcc, s[8:9]
	s_waitcnt vmcnt(0)
	v_fma_f16 v13, v14, v15, v13
	s_andn2_b64 exec, exec, s[8:9]
	s_cbranch_execnz .LBB4_25
; %bb.26:
	s_or_b64 exec, exec, s[8:9]
.LBB4_27:
	s_or_b64 exec, exec, s[2:3]
	v_lshlrev_b32_e32 v0, 2, v11
	v_lshl_or_b32 v3, v12, 1, v0
	v_cmp_eq_u32_e32 vcc, 0, v12
	ds_write_b16 v3, v13
	s_waitcnt lgkmcnt(0)
	s_barrier
	s_and_saveexec_b64 s[2:3], vcc
	s_cbranch_execz .LBB4_29
; %bb.28:
	ds_read_u16 v4, v0 offset:2
	ds_read_u16 v5, v3
	s_waitcnt lgkmcnt(0)
	v_add_f16_e32 v4, v4, v5
	ds_write_b16 v3, v4
.LBB4_29:
	s_or_b64 exec, exec, s[2:3]
	s_waitcnt lgkmcnt(0)
	s_barrier
	s_and_b64 exec, exec, vcc
	s_cbranch_execz .LBB4_31
; %bb.30:
	v_lshlrev_b64 v[1:2], 1, v[1:2]
	v_mov_b32_e32 v3, s1
	v_add_co_u32_e32 v1, vcc, s0, v1
	v_addc_co_u32_e32 v2, vcc, v3, v2, vcc
	global_load_ushort v3, v[1:2], off
	ds_read_u16 v0, v0
	s_waitcnt lgkmcnt(0)
	v_mul_f16_e32 v0, v9, v0
	s_waitcnt vmcnt(0)
	v_fma_f16 v0, v10, v3, v0
	global_store_short v[1:2], v0, off
.LBB4_31:
	s_endpgm
	.section	.rodata,"a",@progbits
	.p2align	6, 0x0
	.amdhsa_kernel _ZN9rocsparseL16sddmm_ell_kernelILi512ELi2EDF16_iiDF16_DF16_DF16_EEv20rocsparse_operation_S1_16rocsparse_order_S2_T3_S3_S3_T2_NS_24const_host_device_scalarIT1_EEPKT4_lPKT5_lS7_PT6_PKS3_21rocsparse_index_base_b
		.amdhsa_group_segment_fixed_size 1024
		.amdhsa_private_segment_fixed_size 0
		.amdhsa_kernarg_size 104
		.amdhsa_user_sgpr_count 6
		.amdhsa_user_sgpr_private_segment_buffer 1
		.amdhsa_user_sgpr_dispatch_ptr 0
		.amdhsa_user_sgpr_queue_ptr 0
		.amdhsa_user_sgpr_kernarg_segment_ptr 1
		.amdhsa_user_sgpr_dispatch_id 0
		.amdhsa_user_sgpr_flat_scratch_init 0
		.amdhsa_user_sgpr_private_segment_size 0
		.amdhsa_uses_dynamic_stack 0
		.amdhsa_system_sgpr_private_segment_wavefront_offset 0
		.amdhsa_system_sgpr_workgroup_id_x 1
		.amdhsa_system_sgpr_workgroup_id_y 0
		.amdhsa_system_sgpr_workgroup_id_z 0
		.amdhsa_system_sgpr_workgroup_info 0
		.amdhsa_system_vgpr_workitem_id 0
		.amdhsa_next_free_vgpr 16
		.amdhsa_next_free_sgpr 24
		.amdhsa_reserve_vcc 1
		.amdhsa_reserve_flat_scratch 0
		.amdhsa_float_round_mode_32 0
		.amdhsa_float_round_mode_16_64 0
		.amdhsa_float_denorm_mode_32 3
		.amdhsa_float_denorm_mode_16_64 3
		.amdhsa_dx10_clamp 1
		.amdhsa_ieee_mode 1
		.amdhsa_fp16_overflow 0
		.amdhsa_exception_fp_ieee_invalid_op 0
		.amdhsa_exception_fp_denorm_src 0
		.amdhsa_exception_fp_ieee_div_zero 0
		.amdhsa_exception_fp_ieee_overflow 0
		.amdhsa_exception_fp_ieee_underflow 0
		.amdhsa_exception_fp_ieee_inexact 0
		.amdhsa_exception_int_div_zero 0
	.end_amdhsa_kernel
	.section	.text._ZN9rocsparseL16sddmm_ell_kernelILi512ELi2EDF16_iiDF16_DF16_DF16_EEv20rocsparse_operation_S1_16rocsparse_order_S2_T3_S3_S3_T2_NS_24const_host_device_scalarIT1_EEPKT4_lPKT5_lS7_PT6_PKS3_21rocsparse_index_base_b,"axG",@progbits,_ZN9rocsparseL16sddmm_ell_kernelILi512ELi2EDF16_iiDF16_DF16_DF16_EEv20rocsparse_operation_S1_16rocsparse_order_S2_T3_S3_S3_T2_NS_24const_host_device_scalarIT1_EEPKT4_lPKT5_lS7_PT6_PKS3_21rocsparse_index_base_b,comdat
.Lfunc_end4:
	.size	_ZN9rocsparseL16sddmm_ell_kernelILi512ELi2EDF16_iiDF16_DF16_DF16_EEv20rocsparse_operation_S1_16rocsparse_order_S2_T3_S3_S3_T2_NS_24const_host_device_scalarIT1_EEPKT4_lPKT5_lS7_PT6_PKS3_21rocsparse_index_base_b, .Lfunc_end4-_ZN9rocsparseL16sddmm_ell_kernelILi512ELi2EDF16_iiDF16_DF16_DF16_EEv20rocsparse_operation_S1_16rocsparse_order_S2_T3_S3_S3_T2_NS_24const_host_device_scalarIT1_EEPKT4_lPKT5_lS7_PT6_PKS3_21rocsparse_index_base_b
                                        ; -- End function
	.set _ZN9rocsparseL16sddmm_ell_kernelILi512ELi2EDF16_iiDF16_DF16_DF16_EEv20rocsparse_operation_S1_16rocsparse_order_S2_T3_S3_S3_T2_NS_24const_host_device_scalarIT1_EEPKT4_lPKT5_lS7_PT6_PKS3_21rocsparse_index_base_b.num_vgpr, 16
	.set _ZN9rocsparseL16sddmm_ell_kernelILi512ELi2EDF16_iiDF16_DF16_DF16_EEv20rocsparse_operation_S1_16rocsparse_order_S2_T3_S3_S3_T2_NS_24const_host_device_scalarIT1_EEPKT4_lPKT5_lS7_PT6_PKS3_21rocsparse_index_base_b.num_agpr, 0
	.set _ZN9rocsparseL16sddmm_ell_kernelILi512ELi2EDF16_iiDF16_DF16_DF16_EEv20rocsparse_operation_S1_16rocsparse_order_S2_T3_S3_S3_T2_NS_24const_host_device_scalarIT1_EEPKT4_lPKT5_lS7_PT6_PKS3_21rocsparse_index_base_b.numbered_sgpr, 24
	.set _ZN9rocsparseL16sddmm_ell_kernelILi512ELi2EDF16_iiDF16_DF16_DF16_EEv20rocsparse_operation_S1_16rocsparse_order_S2_T3_S3_S3_T2_NS_24const_host_device_scalarIT1_EEPKT4_lPKT5_lS7_PT6_PKS3_21rocsparse_index_base_b.num_named_barrier, 0
	.set _ZN9rocsparseL16sddmm_ell_kernelILi512ELi2EDF16_iiDF16_DF16_DF16_EEv20rocsparse_operation_S1_16rocsparse_order_S2_T3_S3_S3_T2_NS_24const_host_device_scalarIT1_EEPKT4_lPKT5_lS7_PT6_PKS3_21rocsparse_index_base_b.private_seg_size, 0
	.set _ZN9rocsparseL16sddmm_ell_kernelILi512ELi2EDF16_iiDF16_DF16_DF16_EEv20rocsparse_operation_S1_16rocsparse_order_S2_T3_S3_S3_T2_NS_24const_host_device_scalarIT1_EEPKT4_lPKT5_lS7_PT6_PKS3_21rocsparse_index_base_b.uses_vcc, 1
	.set _ZN9rocsparseL16sddmm_ell_kernelILi512ELi2EDF16_iiDF16_DF16_DF16_EEv20rocsparse_operation_S1_16rocsparse_order_S2_T3_S3_S3_T2_NS_24const_host_device_scalarIT1_EEPKT4_lPKT5_lS7_PT6_PKS3_21rocsparse_index_base_b.uses_flat_scratch, 0
	.set _ZN9rocsparseL16sddmm_ell_kernelILi512ELi2EDF16_iiDF16_DF16_DF16_EEv20rocsparse_operation_S1_16rocsparse_order_S2_T3_S3_S3_T2_NS_24const_host_device_scalarIT1_EEPKT4_lPKT5_lS7_PT6_PKS3_21rocsparse_index_base_b.has_dyn_sized_stack, 0
	.set _ZN9rocsparseL16sddmm_ell_kernelILi512ELi2EDF16_iiDF16_DF16_DF16_EEv20rocsparse_operation_S1_16rocsparse_order_S2_T3_S3_S3_T2_NS_24const_host_device_scalarIT1_EEPKT4_lPKT5_lS7_PT6_PKS3_21rocsparse_index_base_b.has_recursion, 0
	.set _ZN9rocsparseL16sddmm_ell_kernelILi512ELi2EDF16_iiDF16_DF16_DF16_EEv20rocsparse_operation_S1_16rocsparse_order_S2_T3_S3_S3_T2_NS_24const_host_device_scalarIT1_EEPKT4_lPKT5_lS7_PT6_PKS3_21rocsparse_index_base_b.has_indirect_call, 0
	.section	.AMDGPU.csdata,"",@progbits
; Kernel info:
; codeLenInByte = 1068
; TotalNumSgprs: 28
; NumVgprs: 16
; ScratchSize: 0
; MemoryBound: 0
; FloatMode: 240
; IeeeMode: 1
; LDSByteSize: 1024 bytes/workgroup (compile time only)
; SGPRBlocks: 3
; VGPRBlocks: 3
; NumSGPRsForWavesPerEU: 28
; NumVGPRsForWavesPerEU: 16
; Occupancy: 10
; WaveLimiterHint : 0
; COMPUTE_PGM_RSRC2:SCRATCH_EN: 0
; COMPUTE_PGM_RSRC2:USER_SGPR: 6
; COMPUTE_PGM_RSRC2:TRAP_HANDLER: 0
; COMPUTE_PGM_RSRC2:TGID_X_EN: 1
; COMPUTE_PGM_RSRC2:TGID_Y_EN: 0
; COMPUTE_PGM_RSRC2:TGID_Z_EN: 0
; COMPUTE_PGM_RSRC2:TIDIG_COMP_CNT: 0
	.section	.text._ZN9rocsparseL16sddmm_ell_kernelILi512ELi1EDF16_iiDF16_DF16_DF16_EEv20rocsparse_operation_S1_16rocsparse_order_S2_T3_S3_S3_T2_NS_24const_host_device_scalarIT1_EEPKT4_lPKT5_lS7_PT6_PKS3_21rocsparse_index_base_b,"axG",@progbits,_ZN9rocsparseL16sddmm_ell_kernelILi512ELi1EDF16_iiDF16_DF16_DF16_EEv20rocsparse_operation_S1_16rocsparse_order_S2_T3_S3_S3_T2_NS_24const_host_device_scalarIT1_EEPKT4_lPKT5_lS7_PT6_PKS3_21rocsparse_index_base_b,comdat
	.globl	_ZN9rocsparseL16sddmm_ell_kernelILi512ELi1EDF16_iiDF16_DF16_DF16_EEv20rocsparse_operation_S1_16rocsparse_order_S2_T3_S3_S3_T2_NS_24const_host_device_scalarIT1_EEPKT4_lPKT5_lS7_PT6_PKS3_21rocsparse_index_base_b ; -- Begin function _ZN9rocsparseL16sddmm_ell_kernelILi512ELi1EDF16_iiDF16_DF16_DF16_EEv20rocsparse_operation_S1_16rocsparse_order_S2_T3_S3_S3_T2_NS_24const_host_device_scalarIT1_EEPKT4_lPKT5_lS7_PT6_PKS3_21rocsparse_index_base_b
	.p2align	8
	.type	_ZN9rocsparseL16sddmm_ell_kernelILi512ELi1EDF16_iiDF16_DF16_DF16_EEv20rocsparse_operation_S1_16rocsparse_order_S2_T3_S3_S3_T2_NS_24const_host_device_scalarIT1_EEPKT4_lPKT5_lS7_PT6_PKS3_21rocsparse_index_base_b,@function
_ZN9rocsparseL16sddmm_ell_kernelILi512ELi1EDF16_iiDF16_DF16_DF16_EEv20rocsparse_operation_S1_16rocsparse_order_S2_T3_S3_S3_T2_NS_24const_host_device_scalarIT1_EEPKT4_lPKT5_lS7_PT6_PKS3_21rocsparse_index_base_b: ; @_ZN9rocsparseL16sddmm_ell_kernelILi512ELi1EDF16_iiDF16_DF16_DF16_EEv20rocsparse_operation_S1_16rocsparse_order_S2_T3_S3_S3_T2_NS_24const_host_device_scalarIT1_EEPKT4_lPKT5_lS7_PT6_PKS3_21rocsparse_index_base_b
; %bb.0:
	s_load_dwordx2 s[2:3], s[4:5], 0x60
	s_load_dwordx2 s[12:13], s[4:5], 0x20
	s_load_dwordx4 s[8:11], s[4:5], 0x40
	s_waitcnt lgkmcnt(0)
	s_bitcmp1_b32 s3, 0
	s_cselect_b64 s[14:15], -1, 0
	s_xor_b64 s[0:1], s[14:15], -1
	s_and_b64 vcc, exec, s[14:15]
	v_mov_b32_e32 v9, s12
	s_cbranch_vccnz .LBB5_2
; %bb.1:
	v_mov_b32_e32 v1, 0
	global_load_ushort v9, v1, s[12:13]
.LBB5_2:
	s_andn2_b64 vcc, exec, s[0:1]
	v_mov_b32_e32 v10, s10
	s_cbranch_vccnz .LBB5_4
; %bb.3:
	v_mov_b32_e32 v1, 0
	global_load_ushort v10, v1, s[10:11]
.LBB5_4:
	s_waitcnt vmcnt(0)
	v_cmp_eq_f16_e32 vcc, 0, v9
	v_cmp_eq_f16_e64 s[0:1], 1.0, v10
	s_and_b64 s[0:1], vcc, s[0:1]
	s_and_b64 vcc, exec, s[0:1]
	s_cbranch_vccnz .LBB5_28
; %bb.5:
	s_load_dwordx2 s[10:11], s[4:5], 0x18
	v_lshl_or_b32 v1, s6, 9, v0
	s_waitcnt lgkmcnt(0)
	v_cmp_gt_i32_e32 vcc, s11, v1
	s_and_saveexec_b64 s[0:1], vcc
	s_cbranch_execz .LBB5_28
; %bb.6:
	s_load_dwordx2 s[0:1], s[4:5], 0x58
	v_ashrrev_i32_e32 v2, 31, v1
	v_lshlrev_b64 v[3:4], 2, v[1:2]
	s_waitcnt lgkmcnt(0)
	v_mov_b32_e32 v5, s1
	v_add_co_u32_e32 v3, vcc, s0, v3
	v_addc_co_u32_e32 v4, vcc, v5, v4, vcc
	global_load_dword v3, v[3:4], off
	s_waitcnt vmcnt(0)
	v_subrev_u32_e32 v3, s2, v3
	v_cmp_lt_i32_e32 vcc, -1, v3
	s_and_b64 exec, exec, vcc
	s_cbranch_execz .LBB5_28
; %bb.7:
	s_load_dwordx4 s[0:3], s[4:5], 0x0
	s_load_dword s11, s[4:5], 0x10
	v_sub_u32_e32 v6, 0, v1
	v_max_i32_e32 v6, v1, v6
	s_load_dwordx2 s[14:15], s[4:5], 0x30
	s_waitcnt lgkmcnt(0)
	s_cmp_eq_u32 s2, 1
	s_cselect_b64 s[6:7], -1, 0
	s_cmpk_eq_i32 s0, 0x6f
	s_cselect_b64 s[12:13], -1, 0
	s_cmpk_lg_i32 s0, 0x6f
	s_cselect_b64 s[16:17], -1, 0
	s_abs_i32 s0, s11
	v_cvt_f32_u32_e32 v4, s0
	s_sub_i32 s11, 0, s0
	s_cmp_lg_u32 s2, 1
	v_rcp_iflag_f32_e32 v4, v4
	v_mul_f32_e32 v4, 0x4f7ffffe, v4
	v_cvt_u32_f32_e32 v4, v4
	v_mul_lo_u32 v5, s11, v4
	v_mul_hi_u32 v5, v4, v5
	v_add_u32_e32 v4, v4, v5
	v_mul_hi_u32 v4, v6, v4
	v_mul_lo_u32 v4, v4, s0
	v_sub_u32_e32 v4, v6, v4
	v_subrev_u32_e32 v5, s0, v4
	v_cmp_le_u32_e32 vcc, s0, v4
	v_cndmask_b32_e32 v4, v4, v5, vcc
	v_subrev_u32_e32 v5, s0, v4
	v_cmp_le_u32_e32 vcc, s0, v4
	v_cndmask_b32_e32 v4, v4, v5, vcc
	v_xor_b32_e32 v4, v4, v2
	v_sub_u32_e32 v7, v4, v2
	v_ashrrev_i32_e32 v8, 31, v7
	s_cbranch_scc0 .LBB5_11
; %bb.8:
	v_mov_b32_e32 v5, v7
	s_andn2_b64 vcc, exec, s[12:13]
	v_mov_b32_e32 v6, v8
	s_cbranch_vccnz .LBB5_10
; %bb.9:
	v_mul_lo_u32 v4, s15, v7
	v_mul_lo_u32 v11, s14, v8
	v_mad_u64_u32 v[5:6], s[18:19], s14, v7, 0
	v_add3_u32 v6, v6, v11, v4
.LBB5_10:
	s_cbranch_execz .LBB5_12
	s_branch .LBB5_15
.LBB5_11:
                                        ; implicit-def: $vgpr5_vgpr6
.LBB5_12:
	s_andn2_b64 vcc, exec, s[16:17]
	s_cbranch_vccnz .LBB5_14
; %bb.13:
	v_mul_lo_u32 v4, s15, v7
	v_mul_lo_u32 v5, s14, v8
	v_mad_u64_u32 v[7:8], s[16:17], s14, v7, 0
	v_add3_u32 v8, v8, v5, v4
.LBB5_14:
	v_mov_b32_e32 v5, v7
	v_mov_b32_e32 v6, v8
.LBB5_15:
	s_cmp_eq_u32 s3, 1
	s_cselect_b64 s[16:17], -1, 0
	s_cmpk_eq_i32 s1, 0x6f
	s_cselect_b64 s[18:19], -1, 0
	s_cmpk_lg_i32 s1, 0x6f
	s_cselect_b64 s[0:1], -1, 0
	s_cmp_lg_u32 s3, 1
	v_mov_b32_e32 v4, 0
	s_cbranch_scc0 .LBB5_19
; %bb.16:
	v_mov_b32_e32 v8, v4
	s_andn2_b64 vcc, exec, s[0:1]
	v_mov_b32_e32 v7, v3
	s_cbranch_vccnz .LBB5_18
; %bb.17:
	v_mad_u64_u32 v[7:8], s[0:1], s8, v3, 0
	v_mad_u64_u32 v[11:12], s[0:1], s9, v3, v[8:9]
	v_mov_b32_e32 v8, v11
.LBB5_18:
	s_cbranch_execz .LBB5_20
	s_branch .LBB5_23
.LBB5_19:
                                        ; implicit-def: $vgpr7_vgpr8
.LBB5_20:
	s_andn2_b64 vcc, exec, s[18:19]
	s_cbranch_vccnz .LBB5_22
; %bb.21:
	v_mad_u64_u32 v[7:8], s[0:1], s8, v3, 0
	v_mov_b32_e32 v4, v8
	v_mad_u64_u32 v[3:4], s[0:1], s9, v3, v[4:5]
	v_mov_b32_e32 v8, v3
	v_mov_b32_e32 v3, v7
	;; [unrolled: 1-line block ×3, first 2 shown]
.LBB5_22:
	v_mov_b32_e32 v8, v4
	v_mov_b32_e32 v7, v3
.LBB5_23:
	s_load_dwordx2 s[0:1], s[4:5], 0x50
	s_cmp_lt_i32 s10, 1
	s_cbranch_scc1 .LBB5_26
; %bb.24:
	s_load_dwordx2 s[2:3], s[4:5], 0x38
	s_load_dwordx2 s[20:21], s[4:5], 0x28
	v_lshlrev_b64 v[3:4], 1, v[7:8]
	v_lshlrev_b64 v[5:6], 1, v[5:6]
	s_waitcnt lgkmcnt(0)
	v_mov_b32_e32 v7, s3
	v_add_co_u32_e32 v3, vcc, s2, v3
	s_xor_b64 s[2:3], s[12:13], s[6:7]
	s_and_b64 s[2:3], s[2:3], exec
	s_cselect_b32 s3, 0, s15
	s_cselect_b32 s2, 1, s14
	s_xor_b64 s[4:5], s[18:19], s[16:17]
	s_and_b64 s[4:5], s[4:5], exec
	v_addc_co_u32_e32 v4, vcc, v7, v4, vcc
	s_cselect_b32 s5, s9, 0
	s_cselect_b32 s4, s8, 1
	v_mov_b32_e32 v7, s21
	v_add_co_u32_e32 v5, vcc, s20, v5
	s_lshl_b64 s[2:3], s[2:3], 1
	s_lshl_b64 s[4:5], s[4:5], 1
	v_addc_co_u32_e32 v6, vcc, v7, v6, vcc
	v_mov_b32_e32 v7, 0
	v_mov_b32_e32 v8, s3
	;; [unrolled: 1-line block ×3, first 2 shown]
.LBB5_25:                               ; =>This Inner Loop Header: Depth=1
	global_load_ushort v12, v[5:6], off
	global_load_ushort v13, v[3:4], off
	v_add_co_u32_e32 v5, vcc, s2, v5
	v_addc_co_u32_e32 v6, vcc, v6, v8, vcc
	s_add_i32 s10, s10, -1
	v_add_co_u32_e32 v3, vcc, s4, v3
	v_addc_co_u32_e32 v4, vcc, v4, v11, vcc
	s_cmp_eq_u32 s10, 0
	s_waitcnt vmcnt(0)
	v_fma_f16 v7, v12, v13, v7
	s_cbranch_scc0 .LBB5_25
	s_branch .LBB5_27
.LBB5_26:
	v_mov_b32_e32 v7, 0
.LBB5_27:
	v_lshlrev_b32_e32 v3, 1, v0
	v_lshlrev_b64 v[0:1], 1, v[1:2]
	s_waitcnt lgkmcnt(0)
	v_mov_b32_e32 v2, s1
	v_add_co_u32_e32 v0, vcc, s0, v0
	v_addc_co_u32_e32 v1, vcc, v2, v1, vcc
	ds_write_b16 v3, v7
	s_waitcnt lgkmcnt(0)
	s_barrier
	global_load_ushort v2, v[0:1], off
	ds_read_u16 v3, v3
	s_waitcnt lgkmcnt(0)
	v_mul_f16_e32 v3, v9, v3
	s_waitcnt vmcnt(0)
	v_fma_f16 v2, v10, v2, v3
	global_store_short v[0:1], v2, off
.LBB5_28:
	s_endpgm
	.section	.rodata,"a",@progbits
	.p2align	6, 0x0
	.amdhsa_kernel _ZN9rocsparseL16sddmm_ell_kernelILi512ELi1EDF16_iiDF16_DF16_DF16_EEv20rocsparse_operation_S1_16rocsparse_order_S2_T3_S3_S3_T2_NS_24const_host_device_scalarIT1_EEPKT4_lPKT5_lS7_PT6_PKS3_21rocsparse_index_base_b
		.amdhsa_group_segment_fixed_size 1024
		.amdhsa_private_segment_fixed_size 0
		.amdhsa_kernarg_size 104
		.amdhsa_user_sgpr_count 6
		.amdhsa_user_sgpr_private_segment_buffer 1
		.amdhsa_user_sgpr_dispatch_ptr 0
		.amdhsa_user_sgpr_queue_ptr 0
		.amdhsa_user_sgpr_kernarg_segment_ptr 1
		.amdhsa_user_sgpr_dispatch_id 0
		.amdhsa_user_sgpr_flat_scratch_init 0
		.amdhsa_user_sgpr_private_segment_size 0
		.amdhsa_uses_dynamic_stack 0
		.amdhsa_system_sgpr_private_segment_wavefront_offset 0
		.amdhsa_system_sgpr_workgroup_id_x 1
		.amdhsa_system_sgpr_workgroup_id_y 0
		.amdhsa_system_sgpr_workgroup_id_z 0
		.amdhsa_system_sgpr_workgroup_info 0
		.amdhsa_system_vgpr_workitem_id 0
		.amdhsa_next_free_vgpr 14
		.amdhsa_next_free_sgpr 22
		.amdhsa_reserve_vcc 1
		.amdhsa_reserve_flat_scratch 0
		.amdhsa_float_round_mode_32 0
		.amdhsa_float_round_mode_16_64 0
		.amdhsa_float_denorm_mode_32 3
		.amdhsa_float_denorm_mode_16_64 3
		.amdhsa_dx10_clamp 1
		.amdhsa_ieee_mode 1
		.amdhsa_fp16_overflow 0
		.amdhsa_exception_fp_ieee_invalid_op 0
		.amdhsa_exception_fp_denorm_src 0
		.amdhsa_exception_fp_ieee_div_zero 0
		.amdhsa_exception_fp_ieee_overflow 0
		.amdhsa_exception_fp_ieee_underflow 0
		.amdhsa_exception_fp_ieee_inexact 0
		.amdhsa_exception_int_div_zero 0
	.end_amdhsa_kernel
	.section	.text._ZN9rocsparseL16sddmm_ell_kernelILi512ELi1EDF16_iiDF16_DF16_DF16_EEv20rocsparse_operation_S1_16rocsparse_order_S2_T3_S3_S3_T2_NS_24const_host_device_scalarIT1_EEPKT4_lPKT5_lS7_PT6_PKS3_21rocsparse_index_base_b,"axG",@progbits,_ZN9rocsparseL16sddmm_ell_kernelILi512ELi1EDF16_iiDF16_DF16_DF16_EEv20rocsparse_operation_S1_16rocsparse_order_S2_T3_S3_S3_T2_NS_24const_host_device_scalarIT1_EEPKT4_lPKT5_lS7_PT6_PKS3_21rocsparse_index_base_b,comdat
.Lfunc_end5:
	.size	_ZN9rocsparseL16sddmm_ell_kernelILi512ELi1EDF16_iiDF16_DF16_DF16_EEv20rocsparse_operation_S1_16rocsparse_order_S2_T3_S3_S3_T2_NS_24const_host_device_scalarIT1_EEPKT4_lPKT5_lS7_PT6_PKS3_21rocsparse_index_base_b, .Lfunc_end5-_ZN9rocsparseL16sddmm_ell_kernelILi512ELi1EDF16_iiDF16_DF16_DF16_EEv20rocsparse_operation_S1_16rocsparse_order_S2_T3_S3_S3_T2_NS_24const_host_device_scalarIT1_EEPKT4_lPKT5_lS7_PT6_PKS3_21rocsparse_index_base_b
                                        ; -- End function
	.set _ZN9rocsparseL16sddmm_ell_kernelILi512ELi1EDF16_iiDF16_DF16_DF16_EEv20rocsparse_operation_S1_16rocsparse_order_S2_T3_S3_S3_T2_NS_24const_host_device_scalarIT1_EEPKT4_lPKT5_lS7_PT6_PKS3_21rocsparse_index_base_b.num_vgpr, 14
	.set _ZN9rocsparseL16sddmm_ell_kernelILi512ELi1EDF16_iiDF16_DF16_DF16_EEv20rocsparse_operation_S1_16rocsparse_order_S2_T3_S3_S3_T2_NS_24const_host_device_scalarIT1_EEPKT4_lPKT5_lS7_PT6_PKS3_21rocsparse_index_base_b.num_agpr, 0
	.set _ZN9rocsparseL16sddmm_ell_kernelILi512ELi1EDF16_iiDF16_DF16_DF16_EEv20rocsparse_operation_S1_16rocsparse_order_S2_T3_S3_S3_T2_NS_24const_host_device_scalarIT1_EEPKT4_lPKT5_lS7_PT6_PKS3_21rocsparse_index_base_b.numbered_sgpr, 22
	.set _ZN9rocsparseL16sddmm_ell_kernelILi512ELi1EDF16_iiDF16_DF16_DF16_EEv20rocsparse_operation_S1_16rocsparse_order_S2_T3_S3_S3_T2_NS_24const_host_device_scalarIT1_EEPKT4_lPKT5_lS7_PT6_PKS3_21rocsparse_index_base_b.num_named_barrier, 0
	.set _ZN9rocsparseL16sddmm_ell_kernelILi512ELi1EDF16_iiDF16_DF16_DF16_EEv20rocsparse_operation_S1_16rocsparse_order_S2_T3_S3_S3_T2_NS_24const_host_device_scalarIT1_EEPKT4_lPKT5_lS7_PT6_PKS3_21rocsparse_index_base_b.private_seg_size, 0
	.set _ZN9rocsparseL16sddmm_ell_kernelILi512ELi1EDF16_iiDF16_DF16_DF16_EEv20rocsparse_operation_S1_16rocsparse_order_S2_T3_S3_S3_T2_NS_24const_host_device_scalarIT1_EEPKT4_lPKT5_lS7_PT6_PKS3_21rocsparse_index_base_b.uses_vcc, 1
	.set _ZN9rocsparseL16sddmm_ell_kernelILi512ELi1EDF16_iiDF16_DF16_DF16_EEv20rocsparse_operation_S1_16rocsparse_order_S2_T3_S3_S3_T2_NS_24const_host_device_scalarIT1_EEPKT4_lPKT5_lS7_PT6_PKS3_21rocsparse_index_base_b.uses_flat_scratch, 0
	.set _ZN9rocsparseL16sddmm_ell_kernelILi512ELi1EDF16_iiDF16_DF16_DF16_EEv20rocsparse_operation_S1_16rocsparse_order_S2_T3_S3_S3_T2_NS_24const_host_device_scalarIT1_EEPKT4_lPKT5_lS7_PT6_PKS3_21rocsparse_index_base_b.has_dyn_sized_stack, 0
	.set _ZN9rocsparseL16sddmm_ell_kernelILi512ELi1EDF16_iiDF16_DF16_DF16_EEv20rocsparse_operation_S1_16rocsparse_order_S2_T3_S3_S3_T2_NS_24const_host_device_scalarIT1_EEPKT4_lPKT5_lS7_PT6_PKS3_21rocsparse_index_base_b.has_recursion, 0
	.set _ZN9rocsparseL16sddmm_ell_kernelILi512ELi1EDF16_iiDF16_DF16_DF16_EEv20rocsparse_operation_S1_16rocsparse_order_S2_T3_S3_S3_T2_NS_24const_host_device_scalarIT1_EEPKT4_lPKT5_lS7_PT6_PKS3_21rocsparse_index_base_b.has_indirect_call, 0
	.section	.AMDGPU.csdata,"",@progbits
; Kernel info:
; codeLenInByte = 900
; TotalNumSgprs: 26
; NumVgprs: 14
; ScratchSize: 0
; MemoryBound: 0
; FloatMode: 240
; IeeeMode: 1
; LDSByteSize: 1024 bytes/workgroup (compile time only)
; SGPRBlocks: 3
; VGPRBlocks: 3
; NumSGPRsForWavesPerEU: 26
; NumVGPRsForWavesPerEU: 14
; Occupancy: 10
; WaveLimiterHint : 0
; COMPUTE_PGM_RSRC2:SCRATCH_EN: 0
; COMPUTE_PGM_RSRC2:USER_SGPR: 6
; COMPUTE_PGM_RSRC2:TRAP_HANDLER: 0
; COMPUTE_PGM_RSRC2:TGID_X_EN: 1
; COMPUTE_PGM_RSRC2:TGID_Y_EN: 0
; COMPUTE_PGM_RSRC2:TGID_Z_EN: 0
; COMPUTE_PGM_RSRC2:TIDIG_COMP_CNT: 0
	.section	.text._ZN9rocsparseL23sddmm_ell_sample_kernelILi16ELi32EfifEEvT2_S1_PKT3_lS1_PS2_PKS1_21rocsparse_index_base_,"axG",@progbits,_ZN9rocsparseL23sddmm_ell_sample_kernelILi16ELi32EfifEEvT2_S1_PKT3_lS1_PS2_PKS1_21rocsparse_index_base_,comdat
	.globl	_ZN9rocsparseL23sddmm_ell_sample_kernelILi16ELi32EfifEEvT2_S1_PKT3_lS1_PS2_PKS1_21rocsparse_index_base_ ; -- Begin function _ZN9rocsparseL23sddmm_ell_sample_kernelILi16ELi32EfifEEvT2_S1_PKT3_lS1_PS2_PKS1_21rocsparse_index_base_
	.p2align	8
	.type	_ZN9rocsparseL23sddmm_ell_sample_kernelILi16ELi32EfifEEvT2_S1_PKT3_lS1_PS2_PKS1_21rocsparse_index_base_,@function
_ZN9rocsparseL23sddmm_ell_sample_kernelILi16ELi32EfifEEvT2_S1_PKT3_lS1_PS2_PKS1_21rocsparse_index_base_: ; @_ZN9rocsparseL23sddmm_ell_sample_kernelILi16ELi32EfifEEvT2_S1_PKT3_lS1_PS2_PKS1_21rocsparse_index_base_
; %bb.0:
	s_load_dword s0, s[4:5], 0x18
	v_lshrrev_b32_e32 v1, 5, v0
	v_lshl_or_b32 v1, s6, 4, v1
	s_waitcnt lgkmcnt(0)
	v_cmp_gt_u32_e32 vcc, s0, v1
	s_and_saveexec_b64 s[0:1], vcc
	s_cbranch_execz .LBB6_6
; %bb.1:
	s_load_dwordx2 s[2:3], s[4:5], 0x0
	v_and_b32_e32 v6, 31, v0
	s_waitcnt lgkmcnt(0)
	v_cmp_gt_i32_e32 vcc, s2, v6
	s_and_b64 exec, exec, vcc
	s_cbranch_execz .LBB6_6
; %bb.2:
	s_load_dwordx4 s[16:19], s[4:5], 0x8
	s_load_dwordx4 s[8:11], s[4:5], 0x20
	s_load_dword s12, s[4:5], 0x30
	v_mul_lo_u32 v7, v1, s2
	v_and_b32_e32 v0, 31, v0
	v_lshlrev_b32_e32 v0, 2, v0
	s_waitcnt lgkmcnt(0)
	v_mov_b32_e32 v3, s17
	v_add_co_u32_e32 v2, vcc, s16, v0
	s_lshl_b64 s[4:5], s[18:19], 2
	v_mov_b32_e32 v1, 0
	v_addc_co_u32_e32 v3, vcc, 0, v3, vcc
	s_mov_b64 s[6:7], 0
	v_mov_b32_e32 v8, s11
	s_branch .LBB6_4
.LBB6_3:                                ;   in Loop: Header=BB6_4 Depth=1
	s_or_b64 exec, exec, s[0:1]
	v_add_u32_e32 v6, 32, v6
	v_add_co_u32_e32 v2, vcc, 0x80, v2
	v_cmp_le_i32_e64 s[0:1], s2, v6
	s_or_b64 s[6:7], s[0:1], s[6:7]
	v_addc_co_u32_e32 v3, vcc, 0, v3, vcc
	s_andn2_b64 exec, exec, s[6:7]
	s_cbranch_execz .LBB6_6
.LBB6_4:                                ; =>This Inner Loop Header: Depth=1
	v_add_u32_e32 v0, v7, v6
	v_lshlrev_b64 v[4:5], 2, v[0:1]
	v_add_co_u32_e32 v9, vcc, s10, v4
	v_addc_co_u32_e32 v10, vcc, v8, v5, vcc
	global_load_dword v0, v[9:10], off
	s_waitcnt vmcnt(0)
	v_subrev_u32_e32 v0, s12, v0
	v_cmp_lt_i32_e32 vcc, -1, v0
	v_cmp_gt_i32_e64 s[0:1], s3, v0
	s_and_b64 s[14:15], vcc, s[0:1]
	s_and_saveexec_b64 s[0:1], s[14:15]
	s_cbranch_execz .LBB6_3
; %bb.5:                                ;   in Loop: Header=BB6_4 Depth=1
	v_mad_u64_u32 v[9:10], s[14:15], s4, v0, v[2:3]
	v_add_co_u32_e32 v4, vcc, s8, v4
	v_mad_u64_u32 v[10:11], s[14:15], s5, v0, v[10:11]
	global_load_dword v0, v[9:10], off
	v_mov_b32_e32 v9, s9
	v_addc_co_u32_e32 v5, vcc, v9, v5, vcc
	s_waitcnt vmcnt(0)
	global_store_dword v[4:5], v0, off
	s_branch .LBB6_3
.LBB6_6:
	s_endpgm
	.section	.rodata,"a",@progbits
	.p2align	6, 0x0
	.amdhsa_kernel _ZN9rocsparseL23sddmm_ell_sample_kernelILi16ELi32EfifEEvT2_S1_PKT3_lS1_PS2_PKS1_21rocsparse_index_base_
		.amdhsa_group_segment_fixed_size 0
		.amdhsa_private_segment_fixed_size 0
		.amdhsa_kernarg_size 52
		.amdhsa_user_sgpr_count 6
		.amdhsa_user_sgpr_private_segment_buffer 1
		.amdhsa_user_sgpr_dispatch_ptr 0
		.amdhsa_user_sgpr_queue_ptr 0
		.amdhsa_user_sgpr_kernarg_segment_ptr 1
		.amdhsa_user_sgpr_dispatch_id 0
		.amdhsa_user_sgpr_flat_scratch_init 0
		.amdhsa_user_sgpr_private_segment_size 0
		.amdhsa_uses_dynamic_stack 0
		.amdhsa_system_sgpr_private_segment_wavefront_offset 0
		.amdhsa_system_sgpr_workgroup_id_x 1
		.amdhsa_system_sgpr_workgroup_id_y 0
		.amdhsa_system_sgpr_workgroup_id_z 0
		.amdhsa_system_sgpr_workgroup_info 0
		.amdhsa_system_vgpr_workitem_id 0
		.amdhsa_next_free_vgpr 12
		.amdhsa_next_free_sgpr 20
		.amdhsa_reserve_vcc 1
		.amdhsa_reserve_flat_scratch 0
		.amdhsa_float_round_mode_32 0
		.amdhsa_float_round_mode_16_64 0
		.amdhsa_float_denorm_mode_32 3
		.amdhsa_float_denorm_mode_16_64 3
		.amdhsa_dx10_clamp 1
		.amdhsa_ieee_mode 1
		.amdhsa_fp16_overflow 0
		.amdhsa_exception_fp_ieee_invalid_op 0
		.amdhsa_exception_fp_denorm_src 0
		.amdhsa_exception_fp_ieee_div_zero 0
		.amdhsa_exception_fp_ieee_overflow 0
		.amdhsa_exception_fp_ieee_underflow 0
		.amdhsa_exception_fp_ieee_inexact 0
		.amdhsa_exception_int_div_zero 0
	.end_amdhsa_kernel
	.section	.text._ZN9rocsparseL23sddmm_ell_sample_kernelILi16ELi32EfifEEvT2_S1_PKT3_lS1_PS2_PKS1_21rocsparse_index_base_,"axG",@progbits,_ZN9rocsparseL23sddmm_ell_sample_kernelILi16ELi32EfifEEvT2_S1_PKT3_lS1_PS2_PKS1_21rocsparse_index_base_,comdat
.Lfunc_end6:
	.size	_ZN9rocsparseL23sddmm_ell_sample_kernelILi16ELi32EfifEEvT2_S1_PKT3_lS1_PS2_PKS1_21rocsparse_index_base_, .Lfunc_end6-_ZN9rocsparseL23sddmm_ell_sample_kernelILi16ELi32EfifEEvT2_S1_PKT3_lS1_PS2_PKS1_21rocsparse_index_base_
                                        ; -- End function
	.set _ZN9rocsparseL23sddmm_ell_sample_kernelILi16ELi32EfifEEvT2_S1_PKT3_lS1_PS2_PKS1_21rocsparse_index_base_.num_vgpr, 12
	.set _ZN9rocsparseL23sddmm_ell_sample_kernelILi16ELi32EfifEEvT2_S1_PKT3_lS1_PS2_PKS1_21rocsparse_index_base_.num_agpr, 0
	.set _ZN9rocsparseL23sddmm_ell_sample_kernelILi16ELi32EfifEEvT2_S1_PKT3_lS1_PS2_PKS1_21rocsparse_index_base_.numbered_sgpr, 20
	.set _ZN9rocsparseL23sddmm_ell_sample_kernelILi16ELi32EfifEEvT2_S1_PKT3_lS1_PS2_PKS1_21rocsparse_index_base_.num_named_barrier, 0
	.set _ZN9rocsparseL23sddmm_ell_sample_kernelILi16ELi32EfifEEvT2_S1_PKT3_lS1_PS2_PKS1_21rocsparse_index_base_.private_seg_size, 0
	.set _ZN9rocsparseL23sddmm_ell_sample_kernelILi16ELi32EfifEEvT2_S1_PKT3_lS1_PS2_PKS1_21rocsparse_index_base_.uses_vcc, 1
	.set _ZN9rocsparseL23sddmm_ell_sample_kernelILi16ELi32EfifEEvT2_S1_PKT3_lS1_PS2_PKS1_21rocsparse_index_base_.uses_flat_scratch, 0
	.set _ZN9rocsparseL23sddmm_ell_sample_kernelILi16ELi32EfifEEvT2_S1_PKT3_lS1_PS2_PKS1_21rocsparse_index_base_.has_dyn_sized_stack, 0
	.set _ZN9rocsparseL23sddmm_ell_sample_kernelILi16ELi32EfifEEvT2_S1_PKT3_lS1_PS2_PKS1_21rocsparse_index_base_.has_recursion, 0
	.set _ZN9rocsparseL23sddmm_ell_sample_kernelILi16ELi32EfifEEvT2_S1_PKT3_lS1_PS2_PKS1_21rocsparse_index_base_.has_indirect_call, 0
	.section	.AMDGPU.csdata,"",@progbits
; Kernel info:
; codeLenInByte = 296
; TotalNumSgprs: 24
; NumVgprs: 12
; ScratchSize: 0
; MemoryBound: 0
; FloatMode: 240
; IeeeMode: 1
; LDSByteSize: 0 bytes/workgroup (compile time only)
; SGPRBlocks: 2
; VGPRBlocks: 2
; NumSGPRsForWavesPerEU: 24
; NumVGPRsForWavesPerEU: 12
; Occupancy: 10
; WaveLimiterHint : 1
; COMPUTE_PGM_RSRC2:SCRATCH_EN: 0
; COMPUTE_PGM_RSRC2:USER_SGPR: 6
; COMPUTE_PGM_RSRC2:TRAP_HANDLER: 0
; COMPUTE_PGM_RSRC2:TGID_X_EN: 1
; COMPUTE_PGM_RSRC2:TGID_Y_EN: 0
; COMPUTE_PGM_RSRC2:TGID_Z_EN: 0
; COMPUTE_PGM_RSRC2:TIDIG_COMP_CNT: 0
	.section	.text._ZN9rocsparseL23sddmm_ell_sample_kernelILi16ELi64EfifEEvT2_S1_PKT3_lS1_PS2_PKS1_21rocsparse_index_base_,"axG",@progbits,_ZN9rocsparseL23sddmm_ell_sample_kernelILi16ELi64EfifEEvT2_S1_PKT3_lS1_PS2_PKS1_21rocsparse_index_base_,comdat
	.globl	_ZN9rocsparseL23sddmm_ell_sample_kernelILi16ELi64EfifEEvT2_S1_PKT3_lS1_PS2_PKS1_21rocsparse_index_base_ ; -- Begin function _ZN9rocsparseL23sddmm_ell_sample_kernelILi16ELi64EfifEEvT2_S1_PKT3_lS1_PS2_PKS1_21rocsparse_index_base_
	.p2align	8
	.type	_ZN9rocsparseL23sddmm_ell_sample_kernelILi16ELi64EfifEEvT2_S1_PKT3_lS1_PS2_PKS1_21rocsparse_index_base_,@function
_ZN9rocsparseL23sddmm_ell_sample_kernelILi16ELi64EfifEEvT2_S1_PKT3_lS1_PS2_PKS1_21rocsparse_index_base_: ; @_ZN9rocsparseL23sddmm_ell_sample_kernelILi16ELi64EfifEEvT2_S1_PKT3_lS1_PS2_PKS1_21rocsparse_index_base_
; %bb.0:
	s_load_dword s0, s[4:5], 0x18
	v_lshrrev_b32_e32 v1, 6, v0
	v_lshl_or_b32 v1, s6, 4, v1
	s_waitcnt lgkmcnt(0)
	v_cmp_gt_u32_e32 vcc, s0, v1
	s_and_saveexec_b64 s[0:1], vcc
	s_cbranch_execz .LBB7_6
; %bb.1:
	s_load_dwordx2 s[2:3], s[4:5], 0x0
	v_and_b32_e32 v6, 63, v0
	s_waitcnt lgkmcnt(0)
	v_cmp_gt_i32_e32 vcc, s2, v6
	s_and_b64 exec, exec, vcc
	s_cbranch_execz .LBB7_6
; %bb.2:
	s_load_dwordx4 s[16:19], s[4:5], 0x8
	s_load_dwordx4 s[8:11], s[4:5], 0x20
	s_load_dword s12, s[4:5], 0x30
	v_mul_lo_u32 v7, v1, s2
	v_and_b32_e32 v0, 63, v0
	v_lshlrev_b32_e32 v0, 2, v0
	s_waitcnt lgkmcnt(0)
	v_mov_b32_e32 v3, s17
	v_add_co_u32_e32 v2, vcc, s16, v0
	s_lshl_b64 s[4:5], s[18:19], 2
	v_mov_b32_e32 v1, 0
	v_addc_co_u32_e32 v3, vcc, 0, v3, vcc
	s_mov_b64 s[6:7], 0
	v_mov_b32_e32 v8, s11
	s_branch .LBB7_4
.LBB7_3:                                ;   in Loop: Header=BB7_4 Depth=1
	s_or_b64 exec, exec, s[0:1]
	v_add_u32_e32 v6, 64, v6
	v_add_co_u32_e32 v2, vcc, 0x100, v2
	v_cmp_le_i32_e64 s[0:1], s2, v6
	s_or_b64 s[6:7], s[0:1], s[6:7]
	v_addc_co_u32_e32 v3, vcc, 0, v3, vcc
	s_andn2_b64 exec, exec, s[6:7]
	s_cbranch_execz .LBB7_6
.LBB7_4:                                ; =>This Inner Loop Header: Depth=1
	v_add_u32_e32 v0, v7, v6
	v_lshlrev_b64 v[4:5], 2, v[0:1]
	v_add_co_u32_e32 v9, vcc, s10, v4
	v_addc_co_u32_e32 v10, vcc, v8, v5, vcc
	global_load_dword v0, v[9:10], off
	s_waitcnt vmcnt(0)
	v_subrev_u32_e32 v0, s12, v0
	v_cmp_lt_i32_e32 vcc, -1, v0
	v_cmp_gt_i32_e64 s[0:1], s3, v0
	s_and_b64 s[14:15], vcc, s[0:1]
	s_and_saveexec_b64 s[0:1], s[14:15]
	s_cbranch_execz .LBB7_3
; %bb.5:                                ;   in Loop: Header=BB7_4 Depth=1
	v_mad_u64_u32 v[9:10], s[14:15], s4, v0, v[2:3]
	v_add_co_u32_e32 v4, vcc, s8, v4
	v_mad_u64_u32 v[10:11], s[14:15], s5, v0, v[10:11]
	global_load_dword v0, v[9:10], off
	v_mov_b32_e32 v9, s9
	v_addc_co_u32_e32 v5, vcc, v9, v5, vcc
	s_waitcnt vmcnt(0)
	global_store_dword v[4:5], v0, off
	s_branch .LBB7_3
.LBB7_6:
	s_endpgm
	.section	.rodata,"a",@progbits
	.p2align	6, 0x0
	.amdhsa_kernel _ZN9rocsparseL23sddmm_ell_sample_kernelILi16ELi64EfifEEvT2_S1_PKT3_lS1_PS2_PKS1_21rocsparse_index_base_
		.amdhsa_group_segment_fixed_size 0
		.amdhsa_private_segment_fixed_size 0
		.amdhsa_kernarg_size 52
		.amdhsa_user_sgpr_count 6
		.amdhsa_user_sgpr_private_segment_buffer 1
		.amdhsa_user_sgpr_dispatch_ptr 0
		.amdhsa_user_sgpr_queue_ptr 0
		.amdhsa_user_sgpr_kernarg_segment_ptr 1
		.amdhsa_user_sgpr_dispatch_id 0
		.amdhsa_user_sgpr_flat_scratch_init 0
		.amdhsa_user_sgpr_private_segment_size 0
		.amdhsa_uses_dynamic_stack 0
		.amdhsa_system_sgpr_private_segment_wavefront_offset 0
		.amdhsa_system_sgpr_workgroup_id_x 1
		.amdhsa_system_sgpr_workgroup_id_y 0
		.amdhsa_system_sgpr_workgroup_id_z 0
		.amdhsa_system_sgpr_workgroup_info 0
		.amdhsa_system_vgpr_workitem_id 0
		.amdhsa_next_free_vgpr 12
		.amdhsa_next_free_sgpr 20
		.amdhsa_reserve_vcc 1
		.amdhsa_reserve_flat_scratch 0
		.amdhsa_float_round_mode_32 0
		.amdhsa_float_round_mode_16_64 0
		.amdhsa_float_denorm_mode_32 3
		.amdhsa_float_denorm_mode_16_64 3
		.amdhsa_dx10_clamp 1
		.amdhsa_ieee_mode 1
		.amdhsa_fp16_overflow 0
		.amdhsa_exception_fp_ieee_invalid_op 0
		.amdhsa_exception_fp_denorm_src 0
		.amdhsa_exception_fp_ieee_div_zero 0
		.amdhsa_exception_fp_ieee_overflow 0
		.amdhsa_exception_fp_ieee_underflow 0
		.amdhsa_exception_fp_ieee_inexact 0
		.amdhsa_exception_int_div_zero 0
	.end_amdhsa_kernel
	.section	.text._ZN9rocsparseL23sddmm_ell_sample_kernelILi16ELi64EfifEEvT2_S1_PKT3_lS1_PS2_PKS1_21rocsparse_index_base_,"axG",@progbits,_ZN9rocsparseL23sddmm_ell_sample_kernelILi16ELi64EfifEEvT2_S1_PKT3_lS1_PS2_PKS1_21rocsparse_index_base_,comdat
.Lfunc_end7:
	.size	_ZN9rocsparseL23sddmm_ell_sample_kernelILi16ELi64EfifEEvT2_S1_PKT3_lS1_PS2_PKS1_21rocsparse_index_base_, .Lfunc_end7-_ZN9rocsparseL23sddmm_ell_sample_kernelILi16ELi64EfifEEvT2_S1_PKT3_lS1_PS2_PKS1_21rocsparse_index_base_
                                        ; -- End function
	.set _ZN9rocsparseL23sddmm_ell_sample_kernelILi16ELi64EfifEEvT2_S1_PKT3_lS1_PS2_PKS1_21rocsparse_index_base_.num_vgpr, 12
	.set _ZN9rocsparseL23sddmm_ell_sample_kernelILi16ELi64EfifEEvT2_S1_PKT3_lS1_PS2_PKS1_21rocsparse_index_base_.num_agpr, 0
	.set _ZN9rocsparseL23sddmm_ell_sample_kernelILi16ELi64EfifEEvT2_S1_PKT3_lS1_PS2_PKS1_21rocsparse_index_base_.numbered_sgpr, 20
	.set _ZN9rocsparseL23sddmm_ell_sample_kernelILi16ELi64EfifEEvT2_S1_PKT3_lS1_PS2_PKS1_21rocsparse_index_base_.num_named_barrier, 0
	.set _ZN9rocsparseL23sddmm_ell_sample_kernelILi16ELi64EfifEEvT2_S1_PKT3_lS1_PS2_PKS1_21rocsparse_index_base_.private_seg_size, 0
	.set _ZN9rocsparseL23sddmm_ell_sample_kernelILi16ELi64EfifEEvT2_S1_PKT3_lS1_PS2_PKS1_21rocsparse_index_base_.uses_vcc, 1
	.set _ZN9rocsparseL23sddmm_ell_sample_kernelILi16ELi64EfifEEvT2_S1_PKT3_lS1_PS2_PKS1_21rocsparse_index_base_.uses_flat_scratch, 0
	.set _ZN9rocsparseL23sddmm_ell_sample_kernelILi16ELi64EfifEEvT2_S1_PKT3_lS1_PS2_PKS1_21rocsparse_index_base_.has_dyn_sized_stack, 0
	.set _ZN9rocsparseL23sddmm_ell_sample_kernelILi16ELi64EfifEEvT2_S1_PKT3_lS1_PS2_PKS1_21rocsparse_index_base_.has_recursion, 0
	.set _ZN9rocsparseL23sddmm_ell_sample_kernelILi16ELi64EfifEEvT2_S1_PKT3_lS1_PS2_PKS1_21rocsparse_index_base_.has_indirect_call, 0
	.section	.AMDGPU.csdata,"",@progbits
; Kernel info:
; codeLenInByte = 296
; TotalNumSgprs: 24
; NumVgprs: 12
; ScratchSize: 0
; MemoryBound: 0
; FloatMode: 240
; IeeeMode: 1
; LDSByteSize: 0 bytes/workgroup (compile time only)
; SGPRBlocks: 2
; VGPRBlocks: 2
; NumSGPRsForWavesPerEU: 24
; NumVGPRsForWavesPerEU: 12
; Occupancy: 10
; WaveLimiterHint : 1
; COMPUTE_PGM_RSRC2:SCRATCH_EN: 0
; COMPUTE_PGM_RSRC2:USER_SGPR: 6
; COMPUTE_PGM_RSRC2:TRAP_HANDLER: 0
; COMPUTE_PGM_RSRC2:TGID_X_EN: 1
; COMPUTE_PGM_RSRC2:TGID_Y_EN: 0
; COMPUTE_PGM_RSRC2:TGID_Z_EN: 0
; COMPUTE_PGM_RSRC2:TIDIG_COMP_CNT: 0
	.section	.text._ZN9rocsparseL16sddmm_ell_kernelILi512ELi8EfiifffEEv20rocsparse_operation_S1_16rocsparse_order_S2_T3_S3_S3_T2_NS_24const_host_device_scalarIT1_EEPKT4_lPKT5_lS7_PT6_PKS3_21rocsparse_index_base_b,"axG",@progbits,_ZN9rocsparseL16sddmm_ell_kernelILi512ELi8EfiifffEEv20rocsparse_operation_S1_16rocsparse_order_S2_T3_S3_S3_T2_NS_24const_host_device_scalarIT1_EEPKT4_lPKT5_lS7_PT6_PKS3_21rocsparse_index_base_b,comdat
	.globl	_ZN9rocsparseL16sddmm_ell_kernelILi512ELi8EfiifffEEv20rocsparse_operation_S1_16rocsparse_order_S2_T3_S3_S3_T2_NS_24const_host_device_scalarIT1_EEPKT4_lPKT5_lS7_PT6_PKS3_21rocsparse_index_base_b ; -- Begin function _ZN9rocsparseL16sddmm_ell_kernelILi512ELi8EfiifffEEv20rocsparse_operation_S1_16rocsparse_order_S2_T3_S3_S3_T2_NS_24const_host_device_scalarIT1_EEPKT4_lPKT5_lS7_PT6_PKS3_21rocsparse_index_base_b
	.p2align	8
	.type	_ZN9rocsparseL16sddmm_ell_kernelILi512ELi8EfiifffEEv20rocsparse_operation_S1_16rocsparse_order_S2_T3_S3_S3_T2_NS_24const_host_device_scalarIT1_EEPKT4_lPKT5_lS7_PT6_PKS3_21rocsparse_index_base_b,@function
_ZN9rocsparseL16sddmm_ell_kernelILi512ELi8EfiifffEEv20rocsparse_operation_S1_16rocsparse_order_S2_T3_S3_S3_T2_NS_24const_host_device_scalarIT1_EEPKT4_lPKT5_lS7_PT6_PKS3_21rocsparse_index_base_b: ; @_ZN9rocsparseL16sddmm_ell_kernelILi512ELi8EfiifffEEv20rocsparse_operation_S1_16rocsparse_order_S2_T3_S3_S3_T2_NS_24const_host_device_scalarIT1_EEPKT4_lPKT5_lS7_PT6_PKS3_21rocsparse_index_base_b
; %bb.0:
	s_load_dwordx2 s[8:9], s[4:5], 0x60
	s_load_dwordx2 s[12:13], s[4:5], 0x20
	s_load_dwordx4 s[0:3], s[4:5], 0x40
	s_waitcnt lgkmcnt(0)
	s_bitcmp1_b32 s9, 0
	s_cselect_b64 s[14:15], -1, 0
	s_xor_b64 s[10:11], s[14:15], -1
	s_and_b64 vcc, exec, s[14:15]
	s_cbranch_vccnz .LBB8_2
; %bb.1:
	s_load_dword s12, s[12:13], 0x0
.LBB8_2:
	s_andn2_b64 vcc, exec, s[10:11]
	s_cbranch_vccnz .LBB8_4
; %bb.3:
	s_load_dword s2, s[2:3], 0x0
.LBB8_4:
	s_waitcnt lgkmcnt(0)
	v_cmp_eq_f32_e64 s[10:11], s12, 0
	v_cmp_eq_f32_e64 s[14:15], s2, 1.0
	s_and_b64 s[10:11], s[10:11], s[14:15]
	s_and_b64 vcc, exec, s[10:11]
	s_cbranch_vccnz .LBB8_35
; %bb.5:
	s_load_dwordx2 s[14:15], s[4:5], 0x18
	v_lshrrev_b32_e32 v9, 3, v0
	v_lshl_or_b32 v4, s6, 6, v9
	s_waitcnt lgkmcnt(0)
	v_cmp_gt_i32_e32 vcc, s15, v4
	s_and_saveexec_b64 s[6:7], vcc
	s_cbranch_execz .LBB8_35
; %bb.6:
	s_load_dwordx2 s[6:7], s[4:5], 0x58
	v_ashrrev_i32_e32 v5, 31, v4
	v_lshlrev_b64 v[1:2], 2, v[4:5]
	s_waitcnt lgkmcnt(0)
	v_mov_b32_e32 v3, s7
	v_add_co_u32_e32 v6, vcc, s6, v1
	v_addc_co_u32_e32 v7, vcc, v3, v2, vcc
	global_load_dword v3, v[6:7], off
	s_waitcnt vmcnt(0)
	v_subrev_u32_e32 v3, s8, v3
	v_cmp_lt_i32_e32 vcc, -1, v3
	s_and_b64 exec, exec, vcc
	s_cbranch_execz .LBB8_35
; %bb.7:
	s_load_dwordx4 s[8:11], s[4:5], 0x0
	s_load_dword s3, s[4:5], 0x10
	v_sub_u32_e32 v8, 0, v4
	v_max_i32_e32 v4, v4, v8
	s_load_dwordx2 s[20:21], s[4:5], 0x30
	s_waitcnt lgkmcnt(0)
	s_cmp_eq_u32 s10, 1
	s_cselect_b64 s[16:17], -1, 0
	s_cmpk_eq_i32 s8, 0x6f
	s_cselect_b64 s[18:19], -1, 0
	s_cmpk_lg_i32 s8, 0x6f
	s_cselect_b64 s[6:7], -1, 0
	s_abs_i32 s3, s3
	v_cvt_f32_u32_e32 v6, s3
	s_sub_i32 s8, 0, s3
	s_cmp_lg_u32 s10, 1
	v_rcp_iflag_f32_e32 v6, v6
	v_mul_f32_e32 v6, 0x4f7ffffe, v6
	v_cvt_u32_f32_e32 v6, v6
	v_mul_lo_u32 v7, s8, v6
	v_mul_hi_u32 v7, v6, v7
	v_add_u32_e32 v6, v6, v7
	v_mul_hi_u32 v6, v4, v6
	v_mul_lo_u32 v6, v6, s3
	v_sub_u32_e32 v4, v4, v6
	v_subrev_u32_e32 v6, s3, v4
	v_cmp_le_u32_e32 vcc, s3, v4
	v_cndmask_b32_e32 v4, v4, v6, vcc
	v_subrev_u32_e32 v6, s3, v4
	v_cmp_le_u32_e32 vcc, s3, v4
	v_cndmask_b32_e32 v4, v4, v6, vcc
	v_xor_b32_e32 v4, v4, v5
	v_sub_u32_e32 v7, v4, v5
	v_ashrrev_i32_e32 v8, 31, v7
	s_cbranch_scc0 .LBB8_11
; %bb.8:
	v_mov_b32_e32 v5, v7
	s_andn2_b64 vcc, exec, s[18:19]
	v_mov_b32_e32 v6, v8
	s_cbranch_vccnz .LBB8_10
; %bb.9:
	v_mul_lo_u32 v4, s21, v7
	v_mul_lo_u32 v10, s20, v8
	v_mad_u64_u32 v[5:6], s[22:23], s20, v7, 0
	v_add3_u32 v6, v6, v10, v4
.LBB8_10:
	s_cbranch_execz .LBB8_12
	s_branch .LBB8_15
.LBB8_11:
                                        ; implicit-def: $vgpr5_vgpr6
.LBB8_12:
	s_andn2_b64 vcc, exec, s[6:7]
	s_cbranch_vccnz .LBB8_14
; %bb.13:
	v_mul_lo_u32 v4, s21, v7
	v_mul_lo_u32 v5, s20, v8
	v_mad_u64_u32 v[7:8], s[6:7], s20, v7, 0
	v_add3_u32 v8, v8, v5, v4
.LBB8_14:
	v_mov_b32_e32 v5, v7
	v_mov_b32_e32 v6, v8
.LBB8_15:
	s_cmp_eq_u32 s11, 1
	s_cselect_b64 s[22:23], -1, 0
	s_cmpk_eq_i32 s9, 0x6f
	s_cselect_b64 s[24:25], -1, 0
	s_cmpk_lg_i32 s9, 0x6f
	s_cselect_b64 s[6:7], -1, 0
	s_cmp_lg_u32 s11, 1
	v_mov_b32_e32 v4, 0
	s_cbranch_scc0 .LBB8_19
; %bb.16:
	v_mov_b32_e32 v8, v4
	s_andn2_b64 vcc, exec, s[6:7]
	v_mov_b32_e32 v7, v3
	s_cbranch_vccnz .LBB8_18
; %bb.17:
	v_mad_u64_u32 v[7:8], s[6:7], s0, v3, 0
	v_mad_u64_u32 v[10:11], s[6:7], s1, v3, v[8:9]
	v_mov_b32_e32 v8, v10
.LBB8_18:
	s_cbranch_execz .LBB8_20
	s_branch .LBB8_23
.LBB8_19:
                                        ; implicit-def: $vgpr7_vgpr8
.LBB8_20:
	s_andn2_b64 vcc, exec, s[24:25]
	s_cbranch_vccnz .LBB8_22
; %bb.21:
	v_mad_u64_u32 v[7:8], s[6:7], s0, v3, 0
	v_mov_b32_e32 v4, v8
	v_mad_u64_u32 v[3:4], s[6:7], s1, v3, v[4:5]
	v_mov_b32_e32 v8, v3
	v_mov_b32_e32 v3, v7
	v_mov_b32_e32 v4, v8
.LBB8_22:
	v_mov_b32_e32 v8, v4
	v_mov_b32_e32 v7, v3
.LBB8_23:
	s_load_dwordx2 s[6:7], s[4:5], 0x50
	v_and_b32_e32 v10, 7, v0
	v_cmp_gt_i32_e32 vcc, s14, v10
	v_mov_b32_e32 v11, 0
	s_and_saveexec_b64 s[8:9], vcc
	s_cbranch_execz .LBB8_27
; %bb.24:
	s_xor_b64 s[10:11], s[18:19], s[16:17]
	s_and_b64 s[10:11], s[10:11], exec
	s_cselect_b32 s10, 1, s20
	v_and_b32_e32 v13, 7, v0
	v_mad_u64_u32 v[3:4], s[16:17], s10, v13, 0
	s_cselect_b32 s11, 0, s21
	s_load_dwordx2 s[16:17], s[4:5], 0x28
	s_load_dwordx2 s[18:19], s[4:5], 0x38
	v_mov_b32_e32 v0, v4
	v_mad_u64_u32 v[11:12], s[20:21], s11, v13, v[0:1]
	s_xor_b64 s[4:5], s[24:25], s[22:23]
	s_and_b64 s[4:5], s[4:5], exec
	s_cselect_b32 s4, s0, 1
	s_cselect_b32 s5, s1, 0
	v_mov_b32_e32 v4, v11
	v_mad_u64_u32 v[11:12], s[0:1], s4, v13, 0
	v_lshlrev_b64 v[3:4], 2, v[3:4]
	v_lshlrev_b64 v[5:6], 2, v[5:6]
	v_mov_b32_e32 v0, v12
	v_add_co_u32_e32 v3, vcc, v3, v5
	v_addc_co_u32_e32 v4, vcc, v4, v6, vcc
	v_mad_u64_u32 v[5:6], s[0:1], s5, v13, v[0:1]
	s_waitcnt lgkmcnt(0)
	v_mov_b32_e32 v14, s17
	v_add_co_u32_e32 v3, vcc, s16, v3
	v_mov_b32_e32 v12, v5
	v_lshlrev_b64 v[5:6], 2, v[11:12]
	v_lshlrev_b64 v[7:8], 2, v[7:8]
	v_addc_co_u32_e32 v4, vcc, v14, v4, vcc
	v_add_co_u32_e32 v0, vcc, v5, v7
	v_addc_co_u32_e32 v6, vcc, v6, v8, vcc
	s_lshl_b64 s[0:1], s[10:11], 5
	v_mov_b32_e32 v7, s19
	v_add_co_u32_e32 v5, vcc, s18, v0
	s_lshl_b64 s[4:5], s[4:5], 5
	v_addc_co_u32_e32 v6, vcc, v7, v6, vcc
	v_mov_b32_e32 v11, 0
	s_mov_b64 s[10:11], 0
	v_mov_b32_e32 v0, s1
	v_mov_b32_e32 v7, s5
	;; [unrolled: 1-line block ×3, first 2 shown]
.LBB8_25:                               ; =>This Inner Loop Header: Depth=1
	global_load_dword v12, v[3:4], off
	global_load_dword v13, v[5:6], off
	v_add_co_u32_e32 v3, vcc, s0, v3
	v_addc_co_u32_e32 v4, vcc, v4, v0, vcc
	v_add_co_u32_e32 v5, vcc, s4, v5
	v_add_u32_e32 v8, 8, v8
	v_addc_co_u32_e32 v6, vcc, v6, v7, vcc
	v_cmp_le_i32_e32 vcc, s14, v8
	s_or_b64 s[10:11], vcc, s[10:11]
	s_waitcnt vmcnt(0)
	v_fmac_f32_e32 v11, v12, v13
	s_andn2_b64 exec, exec, s[10:11]
	s_cbranch_execnz .LBB8_25
; %bb.26:
	s_or_b64 exec, exec, s[10:11]
.LBB8_27:
	s_or_b64 exec, exec, s[8:9]
	v_lshlrev_b32_e32 v0, 5, v9
	v_lshl_or_b32 v3, v10, 2, v0
	v_cmp_gt_u32_e32 vcc, 4, v10
	ds_write_b32 v3, v11
	s_waitcnt lgkmcnt(0)
	s_barrier
	s_and_saveexec_b64 s[0:1], vcc
	s_cbranch_execz .LBB8_29
; %bb.28:
	ds_read2_b32 v[4:5], v3 offset1:4
	s_waitcnt lgkmcnt(0)
	v_add_f32_e32 v4, v5, v4
	ds_write_b32 v3, v4
.LBB8_29:
	s_or_b64 exec, exec, s[0:1]
	v_cmp_gt_u32_e32 vcc, 2, v10
	s_waitcnt lgkmcnt(0)
	s_barrier
	s_and_saveexec_b64 s[0:1], vcc
	s_cbranch_execz .LBB8_31
; %bb.30:
	ds_read2_b32 v[4:5], v3 offset1:2
	s_waitcnt lgkmcnt(0)
	v_add_f32_e32 v4, v5, v4
	ds_write_b32 v3, v4
.LBB8_31:
	s_or_b64 exec, exec, s[0:1]
	v_cmp_eq_u32_e32 vcc, 0, v10
	s_waitcnt lgkmcnt(0)
	s_barrier
	s_and_saveexec_b64 s[0:1], vcc
	s_cbranch_execz .LBB8_33
; %bb.32:
	ds_read2_b32 v[4:5], v3 offset1:1
	s_waitcnt lgkmcnt(0)
	v_add_f32_e32 v4, v5, v4
	ds_write_b32 v3, v4
.LBB8_33:
	s_or_b64 exec, exec, s[0:1]
	s_waitcnt lgkmcnt(0)
	s_barrier
	s_and_b64 exec, exec, vcc
	s_cbranch_execz .LBB8_35
; %bb.34:
	v_mov_b32_e32 v3, s7
	v_add_co_u32_e32 v1, vcc, s6, v1
	v_addc_co_u32_e32 v2, vcc, v3, v2, vcc
	global_load_dword v3, v[1:2], off
	ds_read_b32 v0, v0
	s_waitcnt lgkmcnt(0)
	v_mul_f32_e32 v0, s12, v0
	s_waitcnt vmcnt(0)
	v_fmac_f32_e32 v0, s2, v3
	global_store_dword v[1:2], v0, off
.LBB8_35:
	s_endpgm
	.section	.rodata,"a",@progbits
	.p2align	6, 0x0
	.amdhsa_kernel _ZN9rocsparseL16sddmm_ell_kernelILi512ELi8EfiifffEEv20rocsparse_operation_S1_16rocsparse_order_S2_T3_S3_S3_T2_NS_24const_host_device_scalarIT1_EEPKT4_lPKT5_lS7_PT6_PKS3_21rocsparse_index_base_b
		.amdhsa_group_segment_fixed_size 2048
		.amdhsa_private_segment_fixed_size 0
		.amdhsa_kernarg_size 104
		.amdhsa_user_sgpr_count 6
		.amdhsa_user_sgpr_private_segment_buffer 1
		.amdhsa_user_sgpr_dispatch_ptr 0
		.amdhsa_user_sgpr_queue_ptr 0
		.amdhsa_user_sgpr_kernarg_segment_ptr 1
		.amdhsa_user_sgpr_dispatch_id 0
		.amdhsa_user_sgpr_flat_scratch_init 0
		.amdhsa_user_sgpr_private_segment_size 0
		.amdhsa_uses_dynamic_stack 0
		.amdhsa_system_sgpr_private_segment_wavefront_offset 0
		.amdhsa_system_sgpr_workgroup_id_x 1
		.amdhsa_system_sgpr_workgroup_id_y 0
		.amdhsa_system_sgpr_workgroup_id_z 0
		.amdhsa_system_sgpr_workgroup_info 0
		.amdhsa_system_vgpr_workitem_id 0
		.amdhsa_next_free_vgpr 15
		.amdhsa_next_free_sgpr 26
		.amdhsa_reserve_vcc 1
		.amdhsa_reserve_flat_scratch 0
		.amdhsa_float_round_mode_32 0
		.amdhsa_float_round_mode_16_64 0
		.amdhsa_float_denorm_mode_32 3
		.amdhsa_float_denorm_mode_16_64 3
		.amdhsa_dx10_clamp 1
		.amdhsa_ieee_mode 1
		.amdhsa_fp16_overflow 0
		.amdhsa_exception_fp_ieee_invalid_op 0
		.amdhsa_exception_fp_denorm_src 0
		.amdhsa_exception_fp_ieee_div_zero 0
		.amdhsa_exception_fp_ieee_overflow 0
		.amdhsa_exception_fp_ieee_underflow 0
		.amdhsa_exception_fp_ieee_inexact 0
		.amdhsa_exception_int_div_zero 0
	.end_amdhsa_kernel
	.section	.text._ZN9rocsparseL16sddmm_ell_kernelILi512ELi8EfiifffEEv20rocsparse_operation_S1_16rocsparse_order_S2_T3_S3_S3_T2_NS_24const_host_device_scalarIT1_EEPKT4_lPKT5_lS7_PT6_PKS3_21rocsparse_index_base_b,"axG",@progbits,_ZN9rocsparseL16sddmm_ell_kernelILi512ELi8EfiifffEEv20rocsparse_operation_S1_16rocsparse_order_S2_T3_S3_S3_T2_NS_24const_host_device_scalarIT1_EEPKT4_lPKT5_lS7_PT6_PKS3_21rocsparse_index_base_b,comdat
.Lfunc_end8:
	.size	_ZN9rocsparseL16sddmm_ell_kernelILi512ELi8EfiifffEEv20rocsparse_operation_S1_16rocsparse_order_S2_T3_S3_S3_T2_NS_24const_host_device_scalarIT1_EEPKT4_lPKT5_lS7_PT6_PKS3_21rocsparse_index_base_b, .Lfunc_end8-_ZN9rocsparseL16sddmm_ell_kernelILi512ELi8EfiifffEEv20rocsparse_operation_S1_16rocsparse_order_S2_T3_S3_S3_T2_NS_24const_host_device_scalarIT1_EEPKT4_lPKT5_lS7_PT6_PKS3_21rocsparse_index_base_b
                                        ; -- End function
	.set _ZN9rocsparseL16sddmm_ell_kernelILi512ELi8EfiifffEEv20rocsparse_operation_S1_16rocsparse_order_S2_T3_S3_S3_T2_NS_24const_host_device_scalarIT1_EEPKT4_lPKT5_lS7_PT6_PKS3_21rocsparse_index_base_b.num_vgpr, 15
	.set _ZN9rocsparseL16sddmm_ell_kernelILi512ELi8EfiifffEEv20rocsparse_operation_S1_16rocsparse_order_S2_T3_S3_S3_T2_NS_24const_host_device_scalarIT1_EEPKT4_lPKT5_lS7_PT6_PKS3_21rocsparse_index_base_b.num_agpr, 0
	.set _ZN9rocsparseL16sddmm_ell_kernelILi512ELi8EfiifffEEv20rocsparse_operation_S1_16rocsparse_order_S2_T3_S3_S3_T2_NS_24const_host_device_scalarIT1_EEPKT4_lPKT5_lS7_PT6_PKS3_21rocsparse_index_base_b.numbered_sgpr, 26
	.set _ZN9rocsparseL16sddmm_ell_kernelILi512ELi8EfiifffEEv20rocsparse_operation_S1_16rocsparse_order_S2_T3_S3_S3_T2_NS_24const_host_device_scalarIT1_EEPKT4_lPKT5_lS7_PT6_PKS3_21rocsparse_index_base_b.num_named_barrier, 0
	.set _ZN9rocsparseL16sddmm_ell_kernelILi512ELi8EfiifffEEv20rocsparse_operation_S1_16rocsparse_order_S2_T3_S3_S3_T2_NS_24const_host_device_scalarIT1_EEPKT4_lPKT5_lS7_PT6_PKS3_21rocsparse_index_base_b.private_seg_size, 0
	.set _ZN9rocsparseL16sddmm_ell_kernelILi512ELi8EfiifffEEv20rocsparse_operation_S1_16rocsparse_order_S2_T3_S3_S3_T2_NS_24const_host_device_scalarIT1_EEPKT4_lPKT5_lS7_PT6_PKS3_21rocsparse_index_base_b.uses_vcc, 1
	.set _ZN9rocsparseL16sddmm_ell_kernelILi512ELi8EfiifffEEv20rocsparse_operation_S1_16rocsparse_order_S2_T3_S3_S3_T2_NS_24const_host_device_scalarIT1_EEPKT4_lPKT5_lS7_PT6_PKS3_21rocsparse_index_base_b.uses_flat_scratch, 0
	.set _ZN9rocsparseL16sddmm_ell_kernelILi512ELi8EfiifffEEv20rocsparse_operation_S1_16rocsparse_order_S2_T3_S3_S3_T2_NS_24const_host_device_scalarIT1_EEPKT4_lPKT5_lS7_PT6_PKS3_21rocsparse_index_base_b.has_dyn_sized_stack, 0
	.set _ZN9rocsparseL16sddmm_ell_kernelILi512ELi8EfiifffEEv20rocsparse_operation_S1_16rocsparse_order_S2_T3_S3_S3_T2_NS_24const_host_device_scalarIT1_EEPKT4_lPKT5_lS7_PT6_PKS3_21rocsparse_index_base_b.has_recursion, 0
	.set _ZN9rocsparseL16sddmm_ell_kernelILi512ELi8EfiifffEEv20rocsparse_operation_S1_16rocsparse_order_S2_T3_S3_S3_T2_NS_24const_host_device_scalarIT1_EEPKT4_lPKT5_lS7_PT6_PKS3_21rocsparse_index_base_b.has_indirect_call, 0
	.section	.AMDGPU.csdata,"",@progbits
; Kernel info:
; codeLenInByte = 1144
; TotalNumSgprs: 30
; NumVgprs: 15
; ScratchSize: 0
; MemoryBound: 0
; FloatMode: 240
; IeeeMode: 1
; LDSByteSize: 2048 bytes/workgroup (compile time only)
; SGPRBlocks: 3
; VGPRBlocks: 3
; NumSGPRsForWavesPerEU: 30
; NumVGPRsForWavesPerEU: 15
; Occupancy: 10
; WaveLimiterHint : 0
; COMPUTE_PGM_RSRC2:SCRATCH_EN: 0
; COMPUTE_PGM_RSRC2:USER_SGPR: 6
; COMPUTE_PGM_RSRC2:TRAP_HANDLER: 0
; COMPUTE_PGM_RSRC2:TGID_X_EN: 1
; COMPUTE_PGM_RSRC2:TGID_Y_EN: 0
; COMPUTE_PGM_RSRC2:TGID_Z_EN: 0
; COMPUTE_PGM_RSRC2:TIDIG_COMP_CNT: 0
	.section	.text._ZN9rocsparseL16sddmm_ell_kernelILi512ELi4EfiifffEEv20rocsparse_operation_S1_16rocsparse_order_S2_T3_S3_S3_T2_NS_24const_host_device_scalarIT1_EEPKT4_lPKT5_lS7_PT6_PKS3_21rocsparse_index_base_b,"axG",@progbits,_ZN9rocsparseL16sddmm_ell_kernelILi512ELi4EfiifffEEv20rocsparse_operation_S1_16rocsparse_order_S2_T3_S3_S3_T2_NS_24const_host_device_scalarIT1_EEPKT4_lPKT5_lS7_PT6_PKS3_21rocsparse_index_base_b,comdat
	.globl	_ZN9rocsparseL16sddmm_ell_kernelILi512ELi4EfiifffEEv20rocsparse_operation_S1_16rocsparse_order_S2_T3_S3_S3_T2_NS_24const_host_device_scalarIT1_EEPKT4_lPKT5_lS7_PT6_PKS3_21rocsparse_index_base_b ; -- Begin function _ZN9rocsparseL16sddmm_ell_kernelILi512ELi4EfiifffEEv20rocsparse_operation_S1_16rocsparse_order_S2_T3_S3_S3_T2_NS_24const_host_device_scalarIT1_EEPKT4_lPKT5_lS7_PT6_PKS3_21rocsparse_index_base_b
	.p2align	8
	.type	_ZN9rocsparseL16sddmm_ell_kernelILi512ELi4EfiifffEEv20rocsparse_operation_S1_16rocsparse_order_S2_T3_S3_S3_T2_NS_24const_host_device_scalarIT1_EEPKT4_lPKT5_lS7_PT6_PKS3_21rocsparse_index_base_b,@function
_ZN9rocsparseL16sddmm_ell_kernelILi512ELi4EfiifffEEv20rocsparse_operation_S1_16rocsparse_order_S2_T3_S3_S3_T2_NS_24const_host_device_scalarIT1_EEPKT4_lPKT5_lS7_PT6_PKS3_21rocsparse_index_base_b: ; @_ZN9rocsparseL16sddmm_ell_kernelILi512ELi4EfiifffEEv20rocsparse_operation_S1_16rocsparse_order_S2_T3_S3_S3_T2_NS_24const_host_device_scalarIT1_EEPKT4_lPKT5_lS7_PT6_PKS3_21rocsparse_index_base_b
; %bb.0:
	s_load_dwordx2 s[8:9], s[4:5], 0x60
	s_load_dwordx2 s[12:13], s[4:5], 0x20
	s_load_dwordx4 s[0:3], s[4:5], 0x40
	s_waitcnt lgkmcnt(0)
	s_bitcmp1_b32 s9, 0
	s_cselect_b64 s[14:15], -1, 0
	s_xor_b64 s[10:11], s[14:15], -1
	s_and_b64 vcc, exec, s[14:15]
	s_cbranch_vccnz .LBB9_2
; %bb.1:
	s_load_dword s12, s[12:13], 0x0
.LBB9_2:
	s_andn2_b64 vcc, exec, s[10:11]
	s_cbranch_vccnz .LBB9_4
; %bb.3:
	s_load_dword s2, s[2:3], 0x0
.LBB9_4:
	s_waitcnt lgkmcnt(0)
	v_cmp_eq_f32_e64 s[10:11], s12, 0
	v_cmp_eq_f32_e64 s[14:15], s2, 1.0
	s_and_b64 s[10:11], s[10:11], s[14:15]
	s_and_b64 vcc, exec, s[10:11]
	s_cbranch_vccnz .LBB9_33
; %bb.5:
	s_load_dwordx2 s[14:15], s[4:5], 0x18
	v_lshrrev_b32_e32 v9, 2, v0
	v_lshl_or_b32 v4, s6, 7, v9
	s_waitcnt lgkmcnt(0)
	v_cmp_gt_i32_e32 vcc, s15, v4
	s_and_saveexec_b64 s[6:7], vcc
	s_cbranch_execz .LBB9_33
; %bb.6:
	s_load_dwordx2 s[6:7], s[4:5], 0x58
	v_ashrrev_i32_e32 v5, 31, v4
	v_lshlrev_b64 v[1:2], 2, v[4:5]
	s_waitcnt lgkmcnt(0)
	v_mov_b32_e32 v3, s7
	v_add_co_u32_e32 v6, vcc, s6, v1
	v_addc_co_u32_e32 v7, vcc, v3, v2, vcc
	global_load_dword v3, v[6:7], off
	s_waitcnt vmcnt(0)
	v_subrev_u32_e32 v3, s8, v3
	v_cmp_lt_i32_e32 vcc, -1, v3
	s_and_b64 exec, exec, vcc
	s_cbranch_execz .LBB9_33
; %bb.7:
	s_load_dwordx4 s[8:11], s[4:5], 0x0
	s_load_dword s3, s[4:5], 0x10
	v_sub_u32_e32 v8, 0, v4
	v_max_i32_e32 v4, v4, v8
	s_load_dwordx2 s[18:19], s[4:5], 0x30
	s_waitcnt lgkmcnt(0)
	s_cmp_eq_u32 s10, 1
	s_cselect_b64 s[6:7], -1, 0
	s_cmpk_eq_i32 s8, 0x6f
	s_cselect_b64 s[16:17], -1, 0
	s_cmpk_lg_i32 s8, 0x6f
	s_cselect_b64 s[20:21], -1, 0
	s_abs_i32 s3, s3
	v_cvt_f32_u32_e32 v6, s3
	s_sub_i32 s8, 0, s3
	s_cmp_lg_u32 s10, 1
	v_rcp_iflag_f32_e32 v6, v6
	v_mul_f32_e32 v6, 0x4f7ffffe, v6
	v_cvt_u32_f32_e32 v6, v6
	v_mul_lo_u32 v7, s8, v6
	v_mul_hi_u32 v7, v6, v7
	v_add_u32_e32 v6, v6, v7
	v_mul_hi_u32 v6, v4, v6
	v_mul_lo_u32 v6, v6, s3
	v_sub_u32_e32 v4, v4, v6
	v_subrev_u32_e32 v6, s3, v4
	v_cmp_le_u32_e32 vcc, s3, v4
	v_cndmask_b32_e32 v4, v4, v6, vcc
	v_subrev_u32_e32 v6, s3, v4
	v_cmp_le_u32_e32 vcc, s3, v4
	v_cndmask_b32_e32 v4, v4, v6, vcc
	v_xor_b32_e32 v4, v4, v5
	v_sub_u32_e32 v7, v4, v5
	v_ashrrev_i32_e32 v8, 31, v7
	s_cbranch_scc0 .LBB9_11
; %bb.8:
	v_mov_b32_e32 v5, v7
	s_andn2_b64 vcc, exec, s[16:17]
	v_mov_b32_e32 v6, v8
	s_cbranch_vccnz .LBB9_10
; %bb.9:
	v_mul_lo_u32 v4, s19, v7
	v_mul_lo_u32 v10, s18, v8
	v_mad_u64_u32 v[5:6], s[22:23], s18, v7, 0
	v_add3_u32 v6, v6, v10, v4
.LBB9_10:
	s_cbranch_execz .LBB9_12
	s_branch .LBB9_15
.LBB9_11:
                                        ; implicit-def: $vgpr5_vgpr6
.LBB9_12:
	s_andn2_b64 vcc, exec, s[20:21]
	s_cbranch_vccnz .LBB9_14
; %bb.13:
	v_mul_lo_u32 v4, s19, v7
	v_mul_lo_u32 v5, s18, v8
	v_mad_u64_u32 v[7:8], s[20:21], s18, v7, 0
	v_add3_u32 v8, v8, v5, v4
.LBB9_14:
	v_mov_b32_e32 v5, v7
	v_mov_b32_e32 v6, v8
.LBB9_15:
	s_cmp_eq_u32 s11, 1
	s_cselect_b64 s[20:21], -1, 0
	s_cmpk_eq_i32 s9, 0x6f
	s_cselect_b64 s[22:23], -1, 0
	s_cmpk_lg_i32 s9, 0x6f
	s_cselect_b64 s[8:9], -1, 0
	s_cmp_lg_u32 s11, 1
	v_mov_b32_e32 v4, 0
	s_cbranch_scc0 .LBB9_19
; %bb.16:
	v_mov_b32_e32 v8, v4
	s_andn2_b64 vcc, exec, s[8:9]
	v_mov_b32_e32 v7, v3
	s_cbranch_vccnz .LBB9_18
; %bb.17:
	v_mad_u64_u32 v[7:8], s[8:9], s0, v3, 0
	v_mad_u64_u32 v[10:11], s[8:9], s1, v3, v[8:9]
	v_mov_b32_e32 v8, v10
.LBB9_18:
	s_cbranch_execz .LBB9_20
	s_branch .LBB9_23
.LBB9_19:
                                        ; implicit-def: $vgpr7_vgpr8
.LBB9_20:
	s_andn2_b64 vcc, exec, s[22:23]
	s_cbranch_vccnz .LBB9_22
; %bb.21:
	v_mad_u64_u32 v[7:8], s[8:9], s0, v3, 0
	v_mov_b32_e32 v4, v8
	v_mad_u64_u32 v[3:4], s[8:9], s1, v3, v[4:5]
	v_mov_b32_e32 v8, v3
	v_mov_b32_e32 v3, v7
	;; [unrolled: 1-line block ×3, first 2 shown]
.LBB9_22:
	v_mov_b32_e32 v8, v4
	v_mov_b32_e32 v7, v3
.LBB9_23:
	s_load_dwordx2 s[8:9], s[4:5], 0x50
	v_and_b32_e32 v10, 3, v0
	v_cmp_gt_i32_e32 vcc, s14, v10
	v_mov_b32_e32 v11, 0
	s_and_saveexec_b64 s[10:11], vcc
	s_cbranch_execz .LBB9_27
; %bb.24:
	s_xor_b64 s[6:7], s[16:17], s[6:7]
	s_and_b64 s[6:7], s[6:7], exec
	s_cselect_b32 s6, 1, s18
	v_and_b32_e32 v13, 3, v0
	v_mad_u64_u32 v[3:4], s[16:17], s6, v13, 0
	s_cselect_b32 s7, 0, s19
	s_load_dwordx2 s[16:17], s[4:5], 0x28
	s_load_dwordx2 s[24:25], s[4:5], 0x38
	v_mov_b32_e32 v0, v4
	v_mad_u64_u32 v[11:12], s[18:19], s7, v13, v[0:1]
	s_xor_b64 s[4:5], s[22:23], s[20:21]
	s_and_b64 s[4:5], s[4:5], exec
	s_cselect_b32 s4, s0, 1
	s_cselect_b32 s5, s1, 0
	v_mov_b32_e32 v4, v11
	v_mad_u64_u32 v[11:12], s[0:1], s4, v13, 0
	v_lshlrev_b64 v[3:4], 2, v[3:4]
	v_lshlrev_b64 v[5:6], 2, v[5:6]
	v_mov_b32_e32 v0, v12
	v_add_co_u32_e32 v3, vcc, v3, v5
	v_addc_co_u32_e32 v4, vcc, v4, v6, vcc
	v_mad_u64_u32 v[5:6], s[0:1], s5, v13, v[0:1]
	s_waitcnt lgkmcnt(0)
	v_mov_b32_e32 v14, s17
	v_add_co_u32_e32 v3, vcc, s16, v3
	v_mov_b32_e32 v12, v5
	v_lshlrev_b64 v[5:6], 2, v[11:12]
	v_lshlrev_b64 v[7:8], 2, v[7:8]
	v_addc_co_u32_e32 v4, vcc, v14, v4, vcc
	v_add_co_u32_e32 v0, vcc, v5, v7
	v_addc_co_u32_e32 v6, vcc, v6, v8, vcc
	s_lshl_b64 s[0:1], s[6:7], 4
	v_mov_b32_e32 v7, s25
	v_add_co_u32_e32 v5, vcc, s24, v0
	s_lshl_b64 s[4:5], s[4:5], 4
	v_addc_co_u32_e32 v6, vcc, v7, v6, vcc
	v_mov_b32_e32 v11, 0
	s_mov_b64 s[6:7], 0
	v_mov_b32_e32 v0, s1
	v_mov_b32_e32 v7, s5
	;; [unrolled: 1-line block ×3, first 2 shown]
.LBB9_25:                               ; =>This Inner Loop Header: Depth=1
	global_load_dword v12, v[3:4], off
	global_load_dword v13, v[5:6], off
	v_add_co_u32_e32 v3, vcc, s0, v3
	v_addc_co_u32_e32 v4, vcc, v4, v0, vcc
	v_add_co_u32_e32 v5, vcc, s4, v5
	v_add_u32_e32 v8, 4, v8
	v_addc_co_u32_e32 v6, vcc, v6, v7, vcc
	v_cmp_le_i32_e32 vcc, s14, v8
	s_or_b64 s[6:7], vcc, s[6:7]
	s_waitcnt vmcnt(0)
	v_fmac_f32_e32 v11, v12, v13
	s_andn2_b64 exec, exec, s[6:7]
	s_cbranch_execnz .LBB9_25
; %bb.26:
	s_or_b64 exec, exec, s[6:7]
.LBB9_27:
	s_or_b64 exec, exec, s[10:11]
	v_lshlrev_b32_e32 v0, 4, v9
	v_lshl_or_b32 v3, v10, 2, v0
	v_cmp_gt_u32_e32 vcc, 2, v10
	ds_write_b32 v3, v11
	s_waitcnt lgkmcnt(0)
	s_barrier
	s_and_saveexec_b64 s[0:1], vcc
	s_cbranch_execz .LBB9_29
; %bb.28:
	ds_read2_b32 v[4:5], v3 offset1:2
	s_waitcnt lgkmcnt(0)
	v_add_f32_e32 v4, v5, v4
	ds_write_b32 v3, v4
.LBB9_29:
	s_or_b64 exec, exec, s[0:1]
	v_cmp_eq_u32_e32 vcc, 0, v10
	s_waitcnt lgkmcnt(0)
	s_barrier
	s_and_saveexec_b64 s[0:1], vcc
	s_cbranch_execz .LBB9_31
; %bb.30:
	ds_read2_b32 v[4:5], v3 offset1:1
	s_waitcnt lgkmcnt(0)
	v_add_f32_e32 v4, v5, v4
	ds_write_b32 v3, v4
.LBB9_31:
	s_or_b64 exec, exec, s[0:1]
	s_waitcnt lgkmcnt(0)
	s_barrier
	s_and_b64 exec, exec, vcc
	s_cbranch_execz .LBB9_33
; %bb.32:
	v_mov_b32_e32 v3, s9
	v_add_co_u32_e32 v1, vcc, s8, v1
	v_addc_co_u32_e32 v2, vcc, v3, v2, vcc
	global_load_dword v3, v[1:2], off
	ds_read_b32 v0, v0
	s_waitcnt lgkmcnt(0)
	v_mul_f32_e32 v0, s12, v0
	s_waitcnt vmcnt(0)
	v_fmac_f32_e32 v0, s2, v3
	global_store_dword v[1:2], v0, off
.LBB9_33:
	s_endpgm
	.section	.rodata,"a",@progbits
	.p2align	6, 0x0
	.amdhsa_kernel _ZN9rocsparseL16sddmm_ell_kernelILi512ELi4EfiifffEEv20rocsparse_operation_S1_16rocsparse_order_S2_T3_S3_S3_T2_NS_24const_host_device_scalarIT1_EEPKT4_lPKT5_lS7_PT6_PKS3_21rocsparse_index_base_b
		.amdhsa_group_segment_fixed_size 2048
		.amdhsa_private_segment_fixed_size 0
		.amdhsa_kernarg_size 104
		.amdhsa_user_sgpr_count 6
		.amdhsa_user_sgpr_private_segment_buffer 1
		.amdhsa_user_sgpr_dispatch_ptr 0
		.amdhsa_user_sgpr_queue_ptr 0
		.amdhsa_user_sgpr_kernarg_segment_ptr 1
		.amdhsa_user_sgpr_dispatch_id 0
		.amdhsa_user_sgpr_flat_scratch_init 0
		.amdhsa_user_sgpr_private_segment_size 0
		.amdhsa_uses_dynamic_stack 0
		.amdhsa_system_sgpr_private_segment_wavefront_offset 0
		.amdhsa_system_sgpr_workgroup_id_x 1
		.amdhsa_system_sgpr_workgroup_id_y 0
		.amdhsa_system_sgpr_workgroup_id_z 0
		.amdhsa_system_sgpr_workgroup_info 0
		.amdhsa_system_vgpr_workitem_id 0
		.amdhsa_next_free_vgpr 15
		.amdhsa_next_free_sgpr 26
		.amdhsa_reserve_vcc 1
		.amdhsa_reserve_flat_scratch 0
		.amdhsa_float_round_mode_32 0
		.amdhsa_float_round_mode_16_64 0
		.amdhsa_float_denorm_mode_32 3
		.amdhsa_float_denorm_mode_16_64 3
		.amdhsa_dx10_clamp 1
		.amdhsa_ieee_mode 1
		.amdhsa_fp16_overflow 0
		.amdhsa_exception_fp_ieee_invalid_op 0
		.amdhsa_exception_fp_denorm_src 0
		.amdhsa_exception_fp_ieee_div_zero 0
		.amdhsa_exception_fp_ieee_overflow 0
		.amdhsa_exception_fp_ieee_underflow 0
		.amdhsa_exception_fp_ieee_inexact 0
		.amdhsa_exception_int_div_zero 0
	.end_amdhsa_kernel
	.section	.text._ZN9rocsparseL16sddmm_ell_kernelILi512ELi4EfiifffEEv20rocsparse_operation_S1_16rocsparse_order_S2_T3_S3_S3_T2_NS_24const_host_device_scalarIT1_EEPKT4_lPKT5_lS7_PT6_PKS3_21rocsparse_index_base_b,"axG",@progbits,_ZN9rocsparseL16sddmm_ell_kernelILi512ELi4EfiifffEEv20rocsparse_operation_S1_16rocsparse_order_S2_T3_S3_S3_T2_NS_24const_host_device_scalarIT1_EEPKT4_lPKT5_lS7_PT6_PKS3_21rocsparse_index_base_b,comdat
.Lfunc_end9:
	.size	_ZN9rocsparseL16sddmm_ell_kernelILi512ELi4EfiifffEEv20rocsparse_operation_S1_16rocsparse_order_S2_T3_S3_S3_T2_NS_24const_host_device_scalarIT1_EEPKT4_lPKT5_lS7_PT6_PKS3_21rocsparse_index_base_b, .Lfunc_end9-_ZN9rocsparseL16sddmm_ell_kernelILi512ELi4EfiifffEEv20rocsparse_operation_S1_16rocsparse_order_S2_T3_S3_S3_T2_NS_24const_host_device_scalarIT1_EEPKT4_lPKT5_lS7_PT6_PKS3_21rocsparse_index_base_b
                                        ; -- End function
	.set _ZN9rocsparseL16sddmm_ell_kernelILi512ELi4EfiifffEEv20rocsparse_operation_S1_16rocsparse_order_S2_T3_S3_S3_T2_NS_24const_host_device_scalarIT1_EEPKT4_lPKT5_lS7_PT6_PKS3_21rocsparse_index_base_b.num_vgpr, 15
	.set _ZN9rocsparseL16sddmm_ell_kernelILi512ELi4EfiifffEEv20rocsparse_operation_S1_16rocsparse_order_S2_T3_S3_S3_T2_NS_24const_host_device_scalarIT1_EEPKT4_lPKT5_lS7_PT6_PKS3_21rocsparse_index_base_b.num_agpr, 0
	.set _ZN9rocsparseL16sddmm_ell_kernelILi512ELi4EfiifffEEv20rocsparse_operation_S1_16rocsparse_order_S2_T3_S3_S3_T2_NS_24const_host_device_scalarIT1_EEPKT4_lPKT5_lS7_PT6_PKS3_21rocsparse_index_base_b.numbered_sgpr, 26
	.set _ZN9rocsparseL16sddmm_ell_kernelILi512ELi4EfiifffEEv20rocsparse_operation_S1_16rocsparse_order_S2_T3_S3_S3_T2_NS_24const_host_device_scalarIT1_EEPKT4_lPKT5_lS7_PT6_PKS3_21rocsparse_index_base_b.num_named_barrier, 0
	.set _ZN9rocsparseL16sddmm_ell_kernelILi512ELi4EfiifffEEv20rocsparse_operation_S1_16rocsparse_order_S2_T3_S3_S3_T2_NS_24const_host_device_scalarIT1_EEPKT4_lPKT5_lS7_PT6_PKS3_21rocsparse_index_base_b.private_seg_size, 0
	.set _ZN9rocsparseL16sddmm_ell_kernelILi512ELi4EfiifffEEv20rocsparse_operation_S1_16rocsparse_order_S2_T3_S3_S3_T2_NS_24const_host_device_scalarIT1_EEPKT4_lPKT5_lS7_PT6_PKS3_21rocsparse_index_base_b.uses_vcc, 1
	.set _ZN9rocsparseL16sddmm_ell_kernelILi512ELi4EfiifffEEv20rocsparse_operation_S1_16rocsparse_order_S2_T3_S3_S3_T2_NS_24const_host_device_scalarIT1_EEPKT4_lPKT5_lS7_PT6_PKS3_21rocsparse_index_base_b.uses_flat_scratch, 0
	.set _ZN9rocsparseL16sddmm_ell_kernelILi512ELi4EfiifffEEv20rocsparse_operation_S1_16rocsparse_order_S2_T3_S3_S3_T2_NS_24const_host_device_scalarIT1_EEPKT4_lPKT5_lS7_PT6_PKS3_21rocsparse_index_base_b.has_dyn_sized_stack, 0
	.set _ZN9rocsparseL16sddmm_ell_kernelILi512ELi4EfiifffEEv20rocsparse_operation_S1_16rocsparse_order_S2_T3_S3_S3_T2_NS_24const_host_device_scalarIT1_EEPKT4_lPKT5_lS7_PT6_PKS3_21rocsparse_index_base_b.has_recursion, 0
	.set _ZN9rocsparseL16sddmm_ell_kernelILi512ELi4EfiifffEEv20rocsparse_operation_S1_16rocsparse_order_S2_T3_S3_S3_T2_NS_24const_host_device_scalarIT1_EEPKT4_lPKT5_lS7_PT6_PKS3_21rocsparse_index_base_b.has_indirect_call, 0
	.section	.AMDGPU.csdata,"",@progbits
; Kernel info:
; codeLenInByte = 1096
; TotalNumSgprs: 30
; NumVgprs: 15
; ScratchSize: 0
; MemoryBound: 0
; FloatMode: 240
; IeeeMode: 1
; LDSByteSize: 2048 bytes/workgroup (compile time only)
; SGPRBlocks: 3
; VGPRBlocks: 3
; NumSGPRsForWavesPerEU: 30
; NumVGPRsForWavesPerEU: 15
; Occupancy: 10
; WaveLimiterHint : 0
; COMPUTE_PGM_RSRC2:SCRATCH_EN: 0
; COMPUTE_PGM_RSRC2:USER_SGPR: 6
; COMPUTE_PGM_RSRC2:TRAP_HANDLER: 0
; COMPUTE_PGM_RSRC2:TGID_X_EN: 1
; COMPUTE_PGM_RSRC2:TGID_Y_EN: 0
; COMPUTE_PGM_RSRC2:TGID_Z_EN: 0
; COMPUTE_PGM_RSRC2:TIDIG_COMP_CNT: 0
	.section	.text._ZN9rocsparseL16sddmm_ell_kernelILi512ELi2EfiifffEEv20rocsparse_operation_S1_16rocsparse_order_S2_T3_S3_S3_T2_NS_24const_host_device_scalarIT1_EEPKT4_lPKT5_lS7_PT6_PKS3_21rocsparse_index_base_b,"axG",@progbits,_ZN9rocsparseL16sddmm_ell_kernelILi512ELi2EfiifffEEv20rocsparse_operation_S1_16rocsparse_order_S2_T3_S3_S3_T2_NS_24const_host_device_scalarIT1_EEPKT4_lPKT5_lS7_PT6_PKS3_21rocsparse_index_base_b,comdat
	.globl	_ZN9rocsparseL16sddmm_ell_kernelILi512ELi2EfiifffEEv20rocsparse_operation_S1_16rocsparse_order_S2_T3_S3_S3_T2_NS_24const_host_device_scalarIT1_EEPKT4_lPKT5_lS7_PT6_PKS3_21rocsparse_index_base_b ; -- Begin function _ZN9rocsparseL16sddmm_ell_kernelILi512ELi2EfiifffEEv20rocsparse_operation_S1_16rocsparse_order_S2_T3_S3_S3_T2_NS_24const_host_device_scalarIT1_EEPKT4_lPKT5_lS7_PT6_PKS3_21rocsparse_index_base_b
	.p2align	8
	.type	_ZN9rocsparseL16sddmm_ell_kernelILi512ELi2EfiifffEEv20rocsparse_operation_S1_16rocsparse_order_S2_T3_S3_S3_T2_NS_24const_host_device_scalarIT1_EEPKT4_lPKT5_lS7_PT6_PKS3_21rocsparse_index_base_b,@function
_ZN9rocsparseL16sddmm_ell_kernelILi512ELi2EfiifffEEv20rocsparse_operation_S1_16rocsparse_order_S2_T3_S3_S3_T2_NS_24const_host_device_scalarIT1_EEPKT4_lPKT5_lS7_PT6_PKS3_21rocsparse_index_base_b: ; @_ZN9rocsparseL16sddmm_ell_kernelILi512ELi2EfiifffEEv20rocsparse_operation_S1_16rocsparse_order_S2_T3_S3_S3_T2_NS_24const_host_device_scalarIT1_EEPKT4_lPKT5_lS7_PT6_PKS3_21rocsparse_index_base_b
; %bb.0:
	s_load_dwordx2 s[8:9], s[4:5], 0x60
	s_load_dwordx2 s[12:13], s[4:5], 0x20
	s_load_dwordx4 s[0:3], s[4:5], 0x40
	s_waitcnt lgkmcnt(0)
	s_bitcmp1_b32 s9, 0
	s_cselect_b64 s[14:15], -1, 0
	s_xor_b64 s[10:11], s[14:15], -1
	s_and_b64 vcc, exec, s[14:15]
	s_cbranch_vccnz .LBB10_2
; %bb.1:
	s_load_dword s12, s[12:13], 0x0
.LBB10_2:
	s_andn2_b64 vcc, exec, s[10:11]
	s_cbranch_vccnz .LBB10_4
; %bb.3:
	s_load_dword s2, s[2:3], 0x0
.LBB10_4:
	s_waitcnt lgkmcnt(0)
	v_cmp_eq_f32_e64 s[10:11], s12, 0
	v_cmp_eq_f32_e64 s[14:15], s2, 1.0
	s_and_b64 s[10:11], s[10:11], s[14:15]
	s_and_b64 vcc, exec, s[10:11]
	s_cbranch_vccnz .LBB10_31
; %bb.5:
	s_load_dwordx2 s[14:15], s[4:5], 0x18
	v_lshrrev_b32_e32 v9, 1, v0
	v_lshl_or_b32 v4, s6, 8, v9
	s_waitcnt lgkmcnt(0)
	v_cmp_gt_i32_e32 vcc, s15, v4
	s_and_saveexec_b64 s[6:7], vcc
	s_cbranch_execz .LBB10_31
; %bb.6:
	s_load_dwordx2 s[6:7], s[4:5], 0x58
	v_ashrrev_i32_e32 v5, 31, v4
	v_lshlrev_b64 v[1:2], 2, v[4:5]
	s_waitcnt lgkmcnt(0)
	v_mov_b32_e32 v3, s7
	v_add_co_u32_e32 v6, vcc, s6, v1
	v_addc_co_u32_e32 v7, vcc, v3, v2, vcc
	global_load_dword v3, v[6:7], off
	s_waitcnt vmcnt(0)
	v_subrev_u32_e32 v3, s8, v3
	v_cmp_lt_i32_e32 vcc, -1, v3
	s_and_b64 exec, exec, vcc
	s_cbranch_execz .LBB10_31
; %bb.7:
	s_load_dwordx4 s[8:11], s[4:5], 0x0
	s_load_dword s3, s[4:5], 0x10
	v_sub_u32_e32 v8, 0, v4
	v_max_i32_e32 v4, v4, v8
	s_load_dwordx2 s[18:19], s[4:5], 0x30
	s_waitcnt lgkmcnt(0)
	s_cmp_eq_u32 s10, 1
	s_cselect_b64 s[6:7], -1, 0
	s_cmpk_eq_i32 s8, 0x6f
	s_cselect_b64 s[16:17], -1, 0
	s_cmpk_lg_i32 s8, 0x6f
	s_cselect_b64 s[20:21], -1, 0
	s_abs_i32 s3, s3
	v_cvt_f32_u32_e32 v6, s3
	s_sub_i32 s8, 0, s3
	s_cmp_lg_u32 s10, 1
	v_rcp_iflag_f32_e32 v6, v6
	v_mul_f32_e32 v6, 0x4f7ffffe, v6
	v_cvt_u32_f32_e32 v6, v6
	v_mul_lo_u32 v7, s8, v6
	v_mul_hi_u32 v7, v6, v7
	v_add_u32_e32 v6, v6, v7
	v_mul_hi_u32 v6, v4, v6
	v_mul_lo_u32 v6, v6, s3
	v_sub_u32_e32 v4, v4, v6
	v_subrev_u32_e32 v6, s3, v4
	v_cmp_le_u32_e32 vcc, s3, v4
	v_cndmask_b32_e32 v4, v4, v6, vcc
	v_subrev_u32_e32 v6, s3, v4
	v_cmp_le_u32_e32 vcc, s3, v4
	v_cndmask_b32_e32 v4, v4, v6, vcc
	v_xor_b32_e32 v4, v4, v5
	v_sub_u32_e32 v7, v4, v5
	v_ashrrev_i32_e32 v8, 31, v7
	s_cbranch_scc0 .LBB10_11
; %bb.8:
	v_mov_b32_e32 v5, v7
	s_andn2_b64 vcc, exec, s[16:17]
	v_mov_b32_e32 v6, v8
	s_cbranch_vccnz .LBB10_10
; %bb.9:
	v_mul_lo_u32 v4, s19, v7
	v_mul_lo_u32 v10, s18, v8
	v_mad_u64_u32 v[5:6], s[22:23], s18, v7, 0
	v_add3_u32 v6, v6, v10, v4
.LBB10_10:
	s_cbranch_execz .LBB10_12
	s_branch .LBB10_15
.LBB10_11:
                                        ; implicit-def: $vgpr5_vgpr6
.LBB10_12:
	s_andn2_b64 vcc, exec, s[20:21]
	s_cbranch_vccnz .LBB10_14
; %bb.13:
	v_mul_lo_u32 v4, s19, v7
	v_mul_lo_u32 v5, s18, v8
	v_mad_u64_u32 v[7:8], s[20:21], s18, v7, 0
	v_add3_u32 v8, v8, v5, v4
.LBB10_14:
	v_mov_b32_e32 v5, v7
	v_mov_b32_e32 v6, v8
.LBB10_15:
	s_cmp_eq_u32 s11, 1
	s_cselect_b64 s[20:21], -1, 0
	s_cmpk_eq_i32 s9, 0x6f
	s_cselect_b64 s[22:23], -1, 0
	s_cmpk_lg_i32 s9, 0x6f
	s_cselect_b64 s[8:9], -1, 0
	s_cmp_lg_u32 s11, 1
	v_mov_b32_e32 v4, 0
	s_cbranch_scc0 .LBB10_19
; %bb.16:
	v_mov_b32_e32 v8, v4
	s_andn2_b64 vcc, exec, s[8:9]
	v_mov_b32_e32 v7, v3
	s_cbranch_vccnz .LBB10_18
; %bb.17:
	v_mad_u64_u32 v[7:8], s[8:9], s0, v3, 0
	v_mad_u64_u32 v[10:11], s[8:9], s1, v3, v[8:9]
	v_mov_b32_e32 v8, v10
.LBB10_18:
	s_cbranch_execz .LBB10_20
	s_branch .LBB10_23
.LBB10_19:
                                        ; implicit-def: $vgpr7_vgpr8
.LBB10_20:
	s_andn2_b64 vcc, exec, s[22:23]
	s_cbranch_vccnz .LBB10_22
; %bb.21:
	v_mad_u64_u32 v[7:8], s[8:9], s0, v3, 0
	v_mov_b32_e32 v4, v8
	v_mad_u64_u32 v[3:4], s[8:9], s1, v3, v[4:5]
	v_mov_b32_e32 v8, v3
	v_mov_b32_e32 v3, v7
	;; [unrolled: 1-line block ×3, first 2 shown]
.LBB10_22:
	v_mov_b32_e32 v8, v4
	v_mov_b32_e32 v7, v3
.LBB10_23:
	s_load_dwordx2 s[8:9], s[4:5], 0x50
	v_and_b32_e32 v10, 1, v0
	v_cmp_gt_i32_e32 vcc, s14, v10
	v_mov_b32_e32 v11, 0
	s_and_saveexec_b64 s[10:11], vcc
	s_cbranch_execz .LBB10_27
; %bb.24:
	s_load_dwordx2 s[24:25], s[4:5], 0x28
	s_load_dwordx2 s[26:27], s[4:5], 0x38
	s_xor_b64 s[4:5], s[16:17], s[6:7]
	s_and_b64 s[4:5], s[4:5], exec
	s_cselect_b32 s5, 0, s19
	s_cselect_b32 s4, 1, s18
	v_and_b32_e32 v0, 1, v0
	v_mul_lo_u32 v4, s5, v0
	v_mul_lo_u32 v3, s4, v0
	s_xor_b64 s[6:7], s[22:23], s[20:21]
	v_lshlrev_b64 v[5:6], 2, v[5:6]
	s_and_b64 s[6:7], s[6:7], exec
	v_lshlrev_b64 v[3:4], 2, v[3:4]
	s_cselect_b32 s7, s1, 0
	s_cselect_b32 s6, s0, 1
	v_add_co_u32_e32 v3, vcc, v3, v5
	v_addc_co_u32_e32 v4, vcc, v4, v6, vcc
	v_mul_lo_u32 v6, s7, v0
	v_mul_lo_u32 v5, s6, v0
	s_waitcnt lgkmcnt(0)
	v_mov_b32_e32 v11, s25
	v_add_co_u32_e32 v3, vcc, s24, v3
	v_lshlrev_b64 v[5:6], 2, v[5:6]
	v_lshlrev_b64 v[7:8], 2, v[7:8]
	v_addc_co_u32_e32 v4, vcc, v11, v4, vcc
	v_add_co_u32_e32 v0, vcc, v5, v7
	v_addc_co_u32_e32 v6, vcc, v6, v8, vcc
	s_lshl_b64 s[0:1], s[4:5], 3
	v_mov_b32_e32 v7, s27
	v_add_co_u32_e32 v5, vcc, s26, v0
	s_lshl_b64 s[4:5], s[6:7], 3
	v_addc_co_u32_e32 v6, vcc, v7, v6, vcc
	v_mov_b32_e32 v11, 0
	s_mov_b64 s[6:7], 0
	v_mov_b32_e32 v0, s1
	v_mov_b32_e32 v7, s5
	;; [unrolled: 1-line block ×3, first 2 shown]
.LBB10_25:                              ; =>This Inner Loop Header: Depth=1
	global_load_dword v12, v[3:4], off
	global_load_dword v13, v[5:6], off
	v_add_co_u32_e32 v3, vcc, s0, v3
	v_addc_co_u32_e32 v4, vcc, v4, v0, vcc
	v_add_co_u32_e32 v5, vcc, s4, v5
	v_add_u32_e32 v8, 2, v8
	v_addc_co_u32_e32 v6, vcc, v6, v7, vcc
	v_cmp_le_i32_e32 vcc, s14, v8
	s_or_b64 s[6:7], vcc, s[6:7]
	s_waitcnt vmcnt(0)
	v_fmac_f32_e32 v11, v12, v13
	s_andn2_b64 exec, exec, s[6:7]
	s_cbranch_execnz .LBB10_25
; %bb.26:
	s_or_b64 exec, exec, s[6:7]
.LBB10_27:
	s_or_b64 exec, exec, s[10:11]
	v_lshlrev_b32_e32 v0, 3, v9
	v_lshl_or_b32 v3, v10, 2, v0
	v_cmp_eq_u32_e32 vcc, 0, v10
	ds_write_b32 v3, v11
	s_waitcnt lgkmcnt(0)
	s_barrier
	s_and_saveexec_b64 s[0:1], vcc
	s_cbranch_execz .LBB10_29
; %bb.28:
	ds_read_b32 v4, v0 offset:4
	ds_read_b32 v5, v3
	s_waitcnt lgkmcnt(0)
	v_add_f32_e32 v4, v4, v5
	ds_write_b32 v3, v4
.LBB10_29:
	s_or_b64 exec, exec, s[0:1]
	s_waitcnt lgkmcnt(0)
	s_barrier
	s_and_b64 exec, exec, vcc
	s_cbranch_execz .LBB10_31
; %bb.30:
	v_mov_b32_e32 v3, s9
	v_add_co_u32_e32 v1, vcc, s8, v1
	v_addc_co_u32_e32 v2, vcc, v3, v2, vcc
	global_load_dword v3, v[1:2], off
	ds_read_b32 v0, v0
	s_waitcnt lgkmcnt(0)
	v_mul_f32_e32 v0, s12, v0
	s_waitcnt vmcnt(0)
	v_fmac_f32_e32 v0, s2, v3
	global_store_dword v[1:2], v0, off
.LBB10_31:
	s_endpgm
	.section	.rodata,"a",@progbits
	.p2align	6, 0x0
	.amdhsa_kernel _ZN9rocsparseL16sddmm_ell_kernelILi512ELi2EfiifffEEv20rocsparse_operation_S1_16rocsparse_order_S2_T3_S3_S3_T2_NS_24const_host_device_scalarIT1_EEPKT4_lPKT5_lS7_PT6_PKS3_21rocsparse_index_base_b
		.amdhsa_group_segment_fixed_size 2048
		.amdhsa_private_segment_fixed_size 0
		.amdhsa_kernarg_size 104
		.amdhsa_user_sgpr_count 6
		.amdhsa_user_sgpr_private_segment_buffer 1
		.amdhsa_user_sgpr_dispatch_ptr 0
		.amdhsa_user_sgpr_queue_ptr 0
		.amdhsa_user_sgpr_kernarg_segment_ptr 1
		.amdhsa_user_sgpr_dispatch_id 0
		.amdhsa_user_sgpr_flat_scratch_init 0
		.amdhsa_user_sgpr_private_segment_size 0
		.amdhsa_uses_dynamic_stack 0
		.amdhsa_system_sgpr_private_segment_wavefront_offset 0
		.amdhsa_system_sgpr_workgroup_id_x 1
		.amdhsa_system_sgpr_workgroup_id_y 0
		.amdhsa_system_sgpr_workgroup_id_z 0
		.amdhsa_system_sgpr_workgroup_info 0
		.amdhsa_system_vgpr_workitem_id 0
		.amdhsa_next_free_vgpr 14
		.amdhsa_next_free_sgpr 28
		.amdhsa_reserve_vcc 1
		.amdhsa_reserve_flat_scratch 0
		.amdhsa_float_round_mode_32 0
		.amdhsa_float_round_mode_16_64 0
		.amdhsa_float_denorm_mode_32 3
		.amdhsa_float_denorm_mode_16_64 3
		.amdhsa_dx10_clamp 1
		.amdhsa_ieee_mode 1
		.amdhsa_fp16_overflow 0
		.amdhsa_exception_fp_ieee_invalid_op 0
		.amdhsa_exception_fp_denorm_src 0
		.amdhsa_exception_fp_ieee_div_zero 0
		.amdhsa_exception_fp_ieee_overflow 0
		.amdhsa_exception_fp_ieee_underflow 0
		.amdhsa_exception_fp_ieee_inexact 0
		.amdhsa_exception_int_div_zero 0
	.end_amdhsa_kernel
	.section	.text._ZN9rocsparseL16sddmm_ell_kernelILi512ELi2EfiifffEEv20rocsparse_operation_S1_16rocsparse_order_S2_T3_S3_S3_T2_NS_24const_host_device_scalarIT1_EEPKT4_lPKT5_lS7_PT6_PKS3_21rocsparse_index_base_b,"axG",@progbits,_ZN9rocsparseL16sddmm_ell_kernelILi512ELi2EfiifffEEv20rocsparse_operation_S1_16rocsparse_order_S2_T3_S3_S3_T2_NS_24const_host_device_scalarIT1_EEPKT4_lPKT5_lS7_PT6_PKS3_21rocsparse_index_base_b,comdat
.Lfunc_end10:
	.size	_ZN9rocsparseL16sddmm_ell_kernelILi512ELi2EfiifffEEv20rocsparse_operation_S1_16rocsparse_order_S2_T3_S3_S3_T2_NS_24const_host_device_scalarIT1_EEPKT4_lPKT5_lS7_PT6_PKS3_21rocsparse_index_base_b, .Lfunc_end10-_ZN9rocsparseL16sddmm_ell_kernelILi512ELi2EfiifffEEv20rocsparse_operation_S1_16rocsparse_order_S2_T3_S3_S3_T2_NS_24const_host_device_scalarIT1_EEPKT4_lPKT5_lS7_PT6_PKS3_21rocsparse_index_base_b
                                        ; -- End function
	.set _ZN9rocsparseL16sddmm_ell_kernelILi512ELi2EfiifffEEv20rocsparse_operation_S1_16rocsparse_order_S2_T3_S3_S3_T2_NS_24const_host_device_scalarIT1_EEPKT4_lPKT5_lS7_PT6_PKS3_21rocsparse_index_base_b.num_vgpr, 14
	.set _ZN9rocsparseL16sddmm_ell_kernelILi512ELi2EfiifffEEv20rocsparse_operation_S1_16rocsparse_order_S2_T3_S3_S3_T2_NS_24const_host_device_scalarIT1_EEPKT4_lPKT5_lS7_PT6_PKS3_21rocsparse_index_base_b.num_agpr, 0
	.set _ZN9rocsparseL16sddmm_ell_kernelILi512ELi2EfiifffEEv20rocsparse_operation_S1_16rocsparse_order_S2_T3_S3_S3_T2_NS_24const_host_device_scalarIT1_EEPKT4_lPKT5_lS7_PT6_PKS3_21rocsparse_index_base_b.numbered_sgpr, 28
	.set _ZN9rocsparseL16sddmm_ell_kernelILi512ELi2EfiifffEEv20rocsparse_operation_S1_16rocsparse_order_S2_T3_S3_S3_T2_NS_24const_host_device_scalarIT1_EEPKT4_lPKT5_lS7_PT6_PKS3_21rocsparse_index_base_b.num_named_barrier, 0
	.set _ZN9rocsparseL16sddmm_ell_kernelILi512ELi2EfiifffEEv20rocsparse_operation_S1_16rocsparse_order_S2_T3_S3_S3_T2_NS_24const_host_device_scalarIT1_EEPKT4_lPKT5_lS7_PT6_PKS3_21rocsparse_index_base_b.private_seg_size, 0
	.set _ZN9rocsparseL16sddmm_ell_kernelILi512ELi2EfiifffEEv20rocsparse_operation_S1_16rocsparse_order_S2_T3_S3_S3_T2_NS_24const_host_device_scalarIT1_EEPKT4_lPKT5_lS7_PT6_PKS3_21rocsparse_index_base_b.uses_vcc, 1
	.set _ZN9rocsparseL16sddmm_ell_kernelILi512ELi2EfiifffEEv20rocsparse_operation_S1_16rocsparse_order_S2_T3_S3_S3_T2_NS_24const_host_device_scalarIT1_EEPKT4_lPKT5_lS7_PT6_PKS3_21rocsparse_index_base_b.uses_flat_scratch, 0
	.set _ZN9rocsparseL16sddmm_ell_kernelILi512ELi2EfiifffEEv20rocsparse_operation_S1_16rocsparse_order_S2_T3_S3_S3_T2_NS_24const_host_device_scalarIT1_EEPKT4_lPKT5_lS7_PT6_PKS3_21rocsparse_index_base_b.has_dyn_sized_stack, 0
	.set _ZN9rocsparseL16sddmm_ell_kernelILi512ELi2EfiifffEEv20rocsparse_operation_S1_16rocsparse_order_S2_T3_S3_S3_T2_NS_24const_host_device_scalarIT1_EEPKT4_lPKT5_lS7_PT6_PKS3_21rocsparse_index_base_b.has_recursion, 0
	.set _ZN9rocsparseL16sddmm_ell_kernelILi512ELi2EfiifffEEv20rocsparse_operation_S1_16rocsparse_order_S2_T3_S3_S3_T2_NS_24const_host_device_scalarIT1_EEPKT4_lPKT5_lS7_PT6_PKS3_21rocsparse_index_base_b.has_indirect_call, 0
	.section	.AMDGPU.csdata,"",@progbits
; Kernel info:
; codeLenInByte = 1040
; TotalNumSgprs: 32
; NumVgprs: 14
; ScratchSize: 0
; MemoryBound: 0
; FloatMode: 240
; IeeeMode: 1
; LDSByteSize: 2048 bytes/workgroup (compile time only)
; SGPRBlocks: 3
; VGPRBlocks: 3
; NumSGPRsForWavesPerEU: 32
; NumVGPRsForWavesPerEU: 14
; Occupancy: 10
; WaveLimiterHint : 0
; COMPUTE_PGM_RSRC2:SCRATCH_EN: 0
; COMPUTE_PGM_RSRC2:USER_SGPR: 6
; COMPUTE_PGM_RSRC2:TRAP_HANDLER: 0
; COMPUTE_PGM_RSRC2:TGID_X_EN: 1
; COMPUTE_PGM_RSRC2:TGID_Y_EN: 0
; COMPUTE_PGM_RSRC2:TGID_Z_EN: 0
; COMPUTE_PGM_RSRC2:TIDIG_COMP_CNT: 0
	.section	.text._ZN9rocsparseL16sddmm_ell_kernelILi512ELi1EfiifffEEv20rocsparse_operation_S1_16rocsparse_order_S2_T3_S3_S3_T2_NS_24const_host_device_scalarIT1_EEPKT4_lPKT5_lS7_PT6_PKS3_21rocsparse_index_base_b,"axG",@progbits,_ZN9rocsparseL16sddmm_ell_kernelILi512ELi1EfiifffEEv20rocsparse_operation_S1_16rocsparse_order_S2_T3_S3_S3_T2_NS_24const_host_device_scalarIT1_EEPKT4_lPKT5_lS7_PT6_PKS3_21rocsparse_index_base_b,comdat
	.globl	_ZN9rocsparseL16sddmm_ell_kernelILi512ELi1EfiifffEEv20rocsparse_operation_S1_16rocsparse_order_S2_T3_S3_S3_T2_NS_24const_host_device_scalarIT1_EEPKT4_lPKT5_lS7_PT6_PKS3_21rocsparse_index_base_b ; -- Begin function _ZN9rocsparseL16sddmm_ell_kernelILi512ELi1EfiifffEEv20rocsparse_operation_S1_16rocsparse_order_S2_T3_S3_S3_T2_NS_24const_host_device_scalarIT1_EEPKT4_lPKT5_lS7_PT6_PKS3_21rocsparse_index_base_b
	.p2align	8
	.type	_ZN9rocsparseL16sddmm_ell_kernelILi512ELi1EfiifffEEv20rocsparse_operation_S1_16rocsparse_order_S2_T3_S3_S3_T2_NS_24const_host_device_scalarIT1_EEPKT4_lPKT5_lS7_PT6_PKS3_21rocsparse_index_base_b,@function
_ZN9rocsparseL16sddmm_ell_kernelILi512ELi1EfiifffEEv20rocsparse_operation_S1_16rocsparse_order_S2_T3_S3_S3_T2_NS_24const_host_device_scalarIT1_EEPKT4_lPKT5_lS7_PT6_PKS3_21rocsparse_index_base_b: ; @_ZN9rocsparseL16sddmm_ell_kernelILi512ELi1EfiifffEEv20rocsparse_operation_S1_16rocsparse_order_S2_T3_S3_S3_T2_NS_24const_host_device_scalarIT1_EEPKT4_lPKT5_lS7_PT6_PKS3_21rocsparse_index_base_b
; %bb.0:
	s_load_dwordx2 s[8:9], s[4:5], 0x60
	s_load_dwordx2 s[12:13], s[4:5], 0x20
	s_load_dwordx4 s[0:3], s[4:5], 0x40
	s_waitcnt lgkmcnt(0)
	s_bitcmp1_b32 s9, 0
	s_cselect_b64 s[14:15], -1, 0
	s_xor_b64 s[10:11], s[14:15], -1
	s_and_b64 vcc, exec, s[14:15]
	s_cbranch_vccnz .LBB11_2
; %bb.1:
	s_load_dword s12, s[12:13], 0x0
.LBB11_2:
	s_andn2_b64 vcc, exec, s[10:11]
	s_cbranch_vccnz .LBB11_4
; %bb.3:
	s_load_dword s2, s[2:3], 0x0
.LBB11_4:
	s_waitcnt lgkmcnt(0)
	v_cmp_eq_f32_e64 s[10:11], s12, 0
	v_cmp_eq_f32_e64 s[14:15], s2, 1.0
	s_and_b64 s[10:11], s[10:11], s[14:15]
	s_and_b64 vcc, exec, s[10:11]
	s_cbranch_vccnz .LBB11_28
; %bb.5:
	s_load_dwordx2 s[14:15], s[4:5], 0x18
	v_lshl_or_b32 v4, s6, 9, v0
	s_waitcnt lgkmcnt(0)
	v_cmp_gt_i32_e32 vcc, s15, v4
	s_and_saveexec_b64 s[6:7], vcc
	s_cbranch_execz .LBB11_28
; %bb.6:
	s_load_dwordx2 s[6:7], s[4:5], 0x58
	v_ashrrev_i32_e32 v5, 31, v4
	v_lshlrev_b64 v[1:2], 2, v[4:5]
	s_waitcnt lgkmcnt(0)
	v_mov_b32_e32 v3, s7
	v_add_co_u32_e32 v6, vcc, s6, v1
	v_addc_co_u32_e32 v7, vcc, v3, v2, vcc
	global_load_dword v3, v[6:7], off
	s_waitcnt vmcnt(0)
	v_subrev_u32_e32 v3, s8, v3
	v_cmp_lt_i32_e32 vcc, -1, v3
	s_and_b64 exec, exec, vcc
	s_cbranch_execz .LBB11_28
; %bb.7:
	s_load_dwordx4 s[8:11], s[4:5], 0x0
	s_load_dword s3, s[4:5], 0x10
	v_sub_u32_e32 v8, 0, v4
	v_max_i32_e32 v4, v4, v8
	s_load_dwordx2 s[18:19], s[4:5], 0x30
	s_waitcnt lgkmcnt(0)
	s_cmp_eq_u32 s10, 1
	s_cselect_b64 s[6:7], -1, 0
	s_cmpk_eq_i32 s8, 0x6f
	s_cselect_b64 s[16:17], -1, 0
	s_cmpk_lg_i32 s8, 0x6f
	s_cselect_b64 s[20:21], -1, 0
	s_abs_i32 s3, s3
	v_cvt_f32_u32_e32 v6, s3
	s_sub_i32 s8, 0, s3
	s_cmp_lg_u32 s10, 1
	v_rcp_iflag_f32_e32 v6, v6
	v_mul_f32_e32 v6, 0x4f7ffffe, v6
	v_cvt_u32_f32_e32 v6, v6
	v_mul_lo_u32 v7, s8, v6
	v_mul_hi_u32 v7, v6, v7
	v_add_u32_e32 v6, v6, v7
	v_mul_hi_u32 v6, v4, v6
	v_mul_lo_u32 v6, v6, s3
	v_sub_u32_e32 v4, v4, v6
	v_subrev_u32_e32 v6, s3, v4
	v_cmp_le_u32_e32 vcc, s3, v4
	v_cndmask_b32_e32 v4, v4, v6, vcc
	v_subrev_u32_e32 v6, s3, v4
	v_cmp_le_u32_e32 vcc, s3, v4
	v_cndmask_b32_e32 v4, v4, v6, vcc
	v_xor_b32_e32 v4, v4, v5
	v_sub_u32_e32 v7, v4, v5
	v_ashrrev_i32_e32 v8, 31, v7
	s_cbranch_scc0 .LBB11_11
; %bb.8:
	v_mov_b32_e32 v5, v7
	s_andn2_b64 vcc, exec, s[16:17]
	v_mov_b32_e32 v6, v8
	s_cbranch_vccnz .LBB11_10
; %bb.9:
	v_mul_lo_u32 v4, s19, v7
	v_mul_lo_u32 v9, s18, v8
	v_mad_u64_u32 v[5:6], s[22:23], s18, v7, 0
	v_add3_u32 v6, v6, v9, v4
.LBB11_10:
	s_cbranch_execz .LBB11_12
	s_branch .LBB11_15
.LBB11_11:
                                        ; implicit-def: $vgpr5_vgpr6
.LBB11_12:
	s_andn2_b64 vcc, exec, s[20:21]
	s_cbranch_vccnz .LBB11_14
; %bb.13:
	v_mul_lo_u32 v4, s19, v7
	v_mul_lo_u32 v5, s18, v8
	v_mad_u64_u32 v[7:8], s[20:21], s18, v7, 0
	v_add3_u32 v8, v8, v5, v4
.LBB11_14:
	v_mov_b32_e32 v5, v7
	v_mov_b32_e32 v6, v8
.LBB11_15:
	s_cmp_eq_u32 s11, 1
	s_cselect_b64 s[20:21], -1, 0
	s_cmpk_eq_i32 s9, 0x6f
	s_cselect_b64 s[22:23], -1, 0
	s_cmpk_lg_i32 s9, 0x6f
	s_cselect_b64 s[8:9], -1, 0
	s_cmp_lg_u32 s11, 1
	v_mov_b32_e32 v4, 0
	s_cbranch_scc0 .LBB11_19
; %bb.16:
	v_mov_b32_e32 v8, v4
	s_andn2_b64 vcc, exec, s[8:9]
	v_mov_b32_e32 v7, v3
	s_cbranch_vccnz .LBB11_18
; %bb.17:
	v_mad_u64_u32 v[7:8], s[8:9], s0, v3, 0
	v_mad_u64_u32 v[8:9], s[8:9], s1, v3, v[8:9]
.LBB11_18:
	s_cbranch_execz .LBB11_20
	s_branch .LBB11_23
.LBB11_19:
                                        ; implicit-def: $vgpr7_vgpr8
.LBB11_20:
	s_andn2_b64 vcc, exec, s[22:23]
	s_cbranch_vccnz .LBB11_22
; %bb.21:
	v_mad_u64_u32 v[7:8], s[8:9], s0, v3, 0
	v_mov_b32_e32 v4, v8
	v_mad_u64_u32 v[3:4], s[8:9], s1, v3, v[4:5]
	v_mov_b32_e32 v8, v3
	v_mov_b32_e32 v3, v7
	v_mov_b32_e32 v4, v8
.LBB11_22:
	v_mov_b32_e32 v8, v4
	v_mov_b32_e32 v7, v3
.LBB11_23:
	s_load_dwordx2 s[8:9], s[4:5], 0x50
	s_cmp_lt_i32 s14, 1
	s_cbranch_scc1 .LBB11_26
; %bb.24:
	s_load_dwordx2 s[10:11], s[4:5], 0x38
	s_load_dwordx2 s[24:25], s[4:5], 0x28
	s_xor_b64 s[4:5], s[16:17], s[6:7]
	v_lshlrev_b64 v[3:4], 2, v[7:8]
	s_and_b64 s[4:5], s[4:5], exec
	s_cselect_b32 s5, 0, s19
	s_cselect_b32 s4, 1, s18
	s_xor_b64 s[6:7], s[22:23], s[20:21]
	s_waitcnt lgkmcnt(0)
	v_mov_b32_e32 v7, s11
	v_add_co_u32_e32 v3, vcc, s10, v3
	v_lshlrev_b64 v[5:6], 2, v[5:6]
	s_and_b64 s[6:7], s[6:7], exec
	v_addc_co_u32_e32 v4, vcc, v7, v4, vcc
	s_cselect_b32 s7, s1, 0
	s_cselect_b32 s6, s0, 1
	v_mov_b32_e32 v7, s25
	v_add_co_u32_e32 v5, vcc, s24, v5
	s_lshl_b64 s[0:1], s[4:5], 2
	s_lshl_b64 s[4:5], s[6:7], 2
	v_addc_co_u32_e32 v6, vcc, v7, v6, vcc
	v_mov_b32_e32 v7, 0
	v_mov_b32_e32 v8, s1
	;; [unrolled: 1-line block ×3, first 2 shown]
.LBB11_25:                              ; =>This Inner Loop Header: Depth=1
	global_load_dword v10, v[5:6], off
	global_load_dword v11, v[3:4], off
	v_add_co_u32_e32 v5, vcc, s0, v5
	v_addc_co_u32_e32 v6, vcc, v6, v8, vcc
	s_add_i32 s14, s14, -1
	v_add_co_u32_e32 v3, vcc, s4, v3
	v_addc_co_u32_e32 v4, vcc, v4, v9, vcc
	s_cmp_eq_u32 s14, 0
	s_waitcnt vmcnt(0)
	v_fmac_f32_e32 v7, v10, v11
	s_cbranch_scc0 .LBB11_25
	s_branch .LBB11_27
.LBB11_26:
	v_mov_b32_e32 v7, 0
.LBB11_27:
	v_lshlrev_b32_e32 v3, 2, v0
	s_waitcnt lgkmcnt(0)
	v_mov_b32_e32 v4, s9
	v_add_co_u32_e32 v0, vcc, s8, v1
	v_addc_co_u32_e32 v1, vcc, v4, v2, vcc
	ds_write_b32 v3, v7
	s_waitcnt lgkmcnt(0)
	s_barrier
	global_load_dword v2, v[0:1], off
	ds_read_b32 v3, v3
	s_waitcnt lgkmcnt(0)
	v_mul_f32_e32 v3, s12, v3
	s_waitcnt vmcnt(0)
	v_fmac_f32_e32 v3, s2, v2
	global_store_dword v[0:1], v3, off
.LBB11_28:
	s_endpgm
	.section	.rodata,"a",@progbits
	.p2align	6, 0x0
	.amdhsa_kernel _ZN9rocsparseL16sddmm_ell_kernelILi512ELi1EfiifffEEv20rocsparse_operation_S1_16rocsparse_order_S2_T3_S3_S3_T2_NS_24const_host_device_scalarIT1_EEPKT4_lPKT5_lS7_PT6_PKS3_21rocsparse_index_base_b
		.amdhsa_group_segment_fixed_size 2048
		.amdhsa_private_segment_fixed_size 0
		.amdhsa_kernarg_size 104
		.amdhsa_user_sgpr_count 6
		.amdhsa_user_sgpr_private_segment_buffer 1
		.amdhsa_user_sgpr_dispatch_ptr 0
		.amdhsa_user_sgpr_queue_ptr 0
		.amdhsa_user_sgpr_kernarg_segment_ptr 1
		.amdhsa_user_sgpr_dispatch_id 0
		.amdhsa_user_sgpr_flat_scratch_init 0
		.amdhsa_user_sgpr_private_segment_size 0
		.amdhsa_uses_dynamic_stack 0
		.amdhsa_system_sgpr_private_segment_wavefront_offset 0
		.amdhsa_system_sgpr_workgroup_id_x 1
		.amdhsa_system_sgpr_workgroup_id_y 0
		.amdhsa_system_sgpr_workgroup_id_z 0
		.amdhsa_system_sgpr_workgroup_info 0
		.amdhsa_system_vgpr_workitem_id 0
		.amdhsa_next_free_vgpr 12
		.amdhsa_next_free_sgpr 26
		.amdhsa_reserve_vcc 1
		.amdhsa_reserve_flat_scratch 0
		.amdhsa_float_round_mode_32 0
		.amdhsa_float_round_mode_16_64 0
		.amdhsa_float_denorm_mode_32 3
		.amdhsa_float_denorm_mode_16_64 3
		.amdhsa_dx10_clamp 1
		.amdhsa_ieee_mode 1
		.amdhsa_fp16_overflow 0
		.amdhsa_exception_fp_ieee_invalid_op 0
		.amdhsa_exception_fp_denorm_src 0
		.amdhsa_exception_fp_ieee_div_zero 0
		.amdhsa_exception_fp_ieee_overflow 0
		.amdhsa_exception_fp_ieee_underflow 0
		.amdhsa_exception_fp_ieee_inexact 0
		.amdhsa_exception_int_div_zero 0
	.end_amdhsa_kernel
	.section	.text._ZN9rocsparseL16sddmm_ell_kernelILi512ELi1EfiifffEEv20rocsparse_operation_S1_16rocsparse_order_S2_T3_S3_S3_T2_NS_24const_host_device_scalarIT1_EEPKT4_lPKT5_lS7_PT6_PKS3_21rocsparse_index_base_b,"axG",@progbits,_ZN9rocsparseL16sddmm_ell_kernelILi512ELi1EfiifffEEv20rocsparse_operation_S1_16rocsparse_order_S2_T3_S3_S3_T2_NS_24const_host_device_scalarIT1_EEPKT4_lPKT5_lS7_PT6_PKS3_21rocsparse_index_base_b,comdat
.Lfunc_end11:
	.size	_ZN9rocsparseL16sddmm_ell_kernelILi512ELi1EfiifffEEv20rocsparse_operation_S1_16rocsparse_order_S2_T3_S3_S3_T2_NS_24const_host_device_scalarIT1_EEPKT4_lPKT5_lS7_PT6_PKS3_21rocsparse_index_base_b, .Lfunc_end11-_ZN9rocsparseL16sddmm_ell_kernelILi512ELi1EfiifffEEv20rocsparse_operation_S1_16rocsparse_order_S2_T3_S3_S3_T2_NS_24const_host_device_scalarIT1_EEPKT4_lPKT5_lS7_PT6_PKS3_21rocsparse_index_base_b
                                        ; -- End function
	.set _ZN9rocsparseL16sddmm_ell_kernelILi512ELi1EfiifffEEv20rocsparse_operation_S1_16rocsparse_order_S2_T3_S3_S3_T2_NS_24const_host_device_scalarIT1_EEPKT4_lPKT5_lS7_PT6_PKS3_21rocsparse_index_base_b.num_vgpr, 12
	.set _ZN9rocsparseL16sddmm_ell_kernelILi512ELi1EfiifffEEv20rocsparse_operation_S1_16rocsparse_order_S2_T3_S3_S3_T2_NS_24const_host_device_scalarIT1_EEPKT4_lPKT5_lS7_PT6_PKS3_21rocsparse_index_base_b.num_agpr, 0
	.set _ZN9rocsparseL16sddmm_ell_kernelILi512ELi1EfiifffEEv20rocsparse_operation_S1_16rocsparse_order_S2_T3_S3_S3_T2_NS_24const_host_device_scalarIT1_EEPKT4_lPKT5_lS7_PT6_PKS3_21rocsparse_index_base_b.numbered_sgpr, 26
	.set _ZN9rocsparseL16sddmm_ell_kernelILi512ELi1EfiifffEEv20rocsparse_operation_S1_16rocsparse_order_S2_T3_S3_S3_T2_NS_24const_host_device_scalarIT1_EEPKT4_lPKT5_lS7_PT6_PKS3_21rocsparse_index_base_b.num_named_barrier, 0
	.set _ZN9rocsparseL16sddmm_ell_kernelILi512ELi1EfiifffEEv20rocsparse_operation_S1_16rocsparse_order_S2_T3_S3_S3_T2_NS_24const_host_device_scalarIT1_EEPKT4_lPKT5_lS7_PT6_PKS3_21rocsparse_index_base_b.private_seg_size, 0
	.set _ZN9rocsparseL16sddmm_ell_kernelILi512ELi1EfiifffEEv20rocsparse_operation_S1_16rocsparse_order_S2_T3_S3_S3_T2_NS_24const_host_device_scalarIT1_EEPKT4_lPKT5_lS7_PT6_PKS3_21rocsparse_index_base_b.uses_vcc, 1
	.set _ZN9rocsparseL16sddmm_ell_kernelILi512ELi1EfiifffEEv20rocsparse_operation_S1_16rocsparse_order_S2_T3_S3_S3_T2_NS_24const_host_device_scalarIT1_EEPKT4_lPKT5_lS7_PT6_PKS3_21rocsparse_index_base_b.uses_flat_scratch, 0
	.set _ZN9rocsparseL16sddmm_ell_kernelILi512ELi1EfiifffEEv20rocsparse_operation_S1_16rocsparse_order_S2_T3_S3_S3_T2_NS_24const_host_device_scalarIT1_EEPKT4_lPKT5_lS7_PT6_PKS3_21rocsparse_index_base_b.has_dyn_sized_stack, 0
	.set _ZN9rocsparseL16sddmm_ell_kernelILi512ELi1EfiifffEEv20rocsparse_operation_S1_16rocsparse_order_S2_T3_S3_S3_T2_NS_24const_host_device_scalarIT1_EEPKT4_lPKT5_lS7_PT6_PKS3_21rocsparse_index_base_b.has_recursion, 0
	.set _ZN9rocsparseL16sddmm_ell_kernelILi512ELi1EfiifffEEv20rocsparse_operation_S1_16rocsparse_order_S2_T3_S3_S3_T2_NS_24const_host_device_scalarIT1_EEPKT4_lPKT5_lS7_PT6_PKS3_21rocsparse_index_base_b.has_indirect_call, 0
	.section	.AMDGPU.csdata,"",@progbits
; Kernel info:
; codeLenInByte = 868
; TotalNumSgprs: 30
; NumVgprs: 12
; ScratchSize: 0
; MemoryBound: 0
; FloatMode: 240
; IeeeMode: 1
; LDSByteSize: 2048 bytes/workgroup (compile time only)
; SGPRBlocks: 3
; VGPRBlocks: 2
; NumSGPRsForWavesPerEU: 30
; NumVGPRsForWavesPerEU: 12
; Occupancy: 10
; WaveLimiterHint : 0
; COMPUTE_PGM_RSRC2:SCRATCH_EN: 0
; COMPUTE_PGM_RSRC2:USER_SGPR: 6
; COMPUTE_PGM_RSRC2:TRAP_HANDLER: 0
; COMPUTE_PGM_RSRC2:TGID_X_EN: 1
; COMPUTE_PGM_RSRC2:TGID_Y_EN: 0
; COMPUTE_PGM_RSRC2:TGID_Z_EN: 0
; COMPUTE_PGM_RSRC2:TIDIG_COMP_CNT: 0
	.section	.text._ZN9rocsparseL23sddmm_ell_sample_kernelILi16ELi32EdidEEvT2_S1_PKT3_lS1_PS2_PKS1_21rocsparse_index_base_,"axG",@progbits,_ZN9rocsparseL23sddmm_ell_sample_kernelILi16ELi32EdidEEvT2_S1_PKT3_lS1_PS2_PKS1_21rocsparse_index_base_,comdat
	.globl	_ZN9rocsparseL23sddmm_ell_sample_kernelILi16ELi32EdidEEvT2_S1_PKT3_lS1_PS2_PKS1_21rocsparse_index_base_ ; -- Begin function _ZN9rocsparseL23sddmm_ell_sample_kernelILi16ELi32EdidEEvT2_S1_PKT3_lS1_PS2_PKS1_21rocsparse_index_base_
	.p2align	8
	.type	_ZN9rocsparseL23sddmm_ell_sample_kernelILi16ELi32EdidEEvT2_S1_PKT3_lS1_PS2_PKS1_21rocsparse_index_base_,@function
_ZN9rocsparseL23sddmm_ell_sample_kernelILi16ELi32EdidEEvT2_S1_PKT3_lS1_PS2_PKS1_21rocsparse_index_base_: ; @_ZN9rocsparseL23sddmm_ell_sample_kernelILi16ELi32EdidEEvT2_S1_PKT3_lS1_PS2_PKS1_21rocsparse_index_base_
; %bb.0:
	s_load_dword s0, s[4:5], 0x18
	v_lshrrev_b32_e32 v1, 5, v0
	v_lshl_or_b32 v1, s6, 4, v1
	s_waitcnt lgkmcnt(0)
	v_cmp_gt_u32_e32 vcc, s0, v1
	s_and_saveexec_b64 s[0:1], vcc
	s_cbranch_execz .LBB12_6
; %bb.1:
	s_load_dwordx2 s[2:3], s[4:5], 0x0
	v_and_b32_e32 v4, 31, v0
	s_waitcnt lgkmcnt(0)
	v_cmp_gt_i32_e32 vcc, s2, v4
	s_and_b64 exec, exec, vcc
	s_cbranch_execz .LBB12_6
; %bb.2:
	s_load_dwordx4 s[16:19], s[4:5], 0x8
	s_load_dwordx4 s[8:11], s[4:5], 0x20
	s_load_dword s12, s[4:5], 0x30
	v_mul_lo_u32 v5, v1, s2
	v_and_b32_e32 v0, 31, v0
	v_lshlrev_b32_e32 v0, 3, v0
	s_waitcnt lgkmcnt(0)
	v_mov_b32_e32 v3, s17
	v_add_co_u32_e32 v2, vcc, s16, v0
	s_lshl_b64 s[4:5], s[18:19], 3
	v_mov_b32_e32 v1, 0
	v_addc_co_u32_e32 v3, vcc, 0, v3, vcc
	s_mov_b64 s[6:7], 0
	v_mov_b32_e32 v6, s11
	s_branch .LBB12_4
.LBB12_3:                               ;   in Loop: Header=BB12_4 Depth=1
	s_or_b64 exec, exec, s[0:1]
	v_add_u32_e32 v4, 32, v4
	v_add_co_u32_e32 v2, vcc, 0x100, v2
	v_cmp_le_i32_e64 s[0:1], s2, v4
	s_or_b64 s[6:7], s[0:1], s[6:7]
	v_addc_co_u32_e32 v3, vcc, 0, v3, vcc
	s_andn2_b64 exec, exec, s[6:7]
	s_cbranch_execz .LBB12_6
.LBB12_4:                               ; =>This Inner Loop Header: Depth=1
	v_add_u32_e32 v0, v5, v4
	v_lshlrev_b64 v[7:8], 2, v[0:1]
	v_add_co_u32_e32 v7, vcc, s10, v7
	v_addc_co_u32_e32 v8, vcc, v6, v8, vcc
	global_load_dword v7, v[7:8], off
	s_waitcnt vmcnt(0)
	v_subrev_u32_e32 v7, s12, v7
	v_cmp_lt_i32_e32 vcc, -1, v7
	v_cmp_gt_i32_e64 s[0:1], s3, v7
	s_and_b64 s[14:15], vcc, s[0:1]
	s_and_saveexec_b64 s[0:1], s[14:15]
	s_cbranch_execz .LBB12_3
; %bb.5:                                ;   in Loop: Header=BB12_4 Depth=1
	v_mad_u64_u32 v[8:9], s[14:15], s4, v7, v[2:3]
	v_mad_u64_u32 v[9:10], s[14:15], s5, v7, v[9:10]
	global_load_dwordx2 v[7:8], v[8:9], off
	v_lshlrev_b64 v[9:10], 3, v[0:1]
	v_mov_b32_e32 v0, s9
	v_add_co_u32_e32 v9, vcc, s8, v9
	v_addc_co_u32_e32 v10, vcc, v0, v10, vcc
	s_waitcnt vmcnt(0)
	global_store_dwordx2 v[9:10], v[7:8], off
	s_branch .LBB12_3
.LBB12_6:
	s_endpgm
	.section	.rodata,"a",@progbits
	.p2align	6, 0x0
	.amdhsa_kernel _ZN9rocsparseL23sddmm_ell_sample_kernelILi16ELi32EdidEEvT2_S1_PKT3_lS1_PS2_PKS1_21rocsparse_index_base_
		.amdhsa_group_segment_fixed_size 0
		.amdhsa_private_segment_fixed_size 0
		.amdhsa_kernarg_size 52
		.amdhsa_user_sgpr_count 6
		.amdhsa_user_sgpr_private_segment_buffer 1
		.amdhsa_user_sgpr_dispatch_ptr 0
		.amdhsa_user_sgpr_queue_ptr 0
		.amdhsa_user_sgpr_kernarg_segment_ptr 1
		.amdhsa_user_sgpr_dispatch_id 0
		.amdhsa_user_sgpr_flat_scratch_init 0
		.amdhsa_user_sgpr_private_segment_size 0
		.amdhsa_uses_dynamic_stack 0
		.amdhsa_system_sgpr_private_segment_wavefront_offset 0
		.amdhsa_system_sgpr_workgroup_id_x 1
		.amdhsa_system_sgpr_workgroup_id_y 0
		.amdhsa_system_sgpr_workgroup_id_z 0
		.amdhsa_system_sgpr_workgroup_info 0
		.amdhsa_system_vgpr_workitem_id 0
		.amdhsa_next_free_vgpr 11
		.amdhsa_next_free_sgpr 20
		.amdhsa_reserve_vcc 1
		.amdhsa_reserve_flat_scratch 0
		.amdhsa_float_round_mode_32 0
		.amdhsa_float_round_mode_16_64 0
		.amdhsa_float_denorm_mode_32 3
		.amdhsa_float_denorm_mode_16_64 3
		.amdhsa_dx10_clamp 1
		.amdhsa_ieee_mode 1
		.amdhsa_fp16_overflow 0
		.amdhsa_exception_fp_ieee_invalid_op 0
		.amdhsa_exception_fp_denorm_src 0
		.amdhsa_exception_fp_ieee_div_zero 0
		.amdhsa_exception_fp_ieee_overflow 0
		.amdhsa_exception_fp_ieee_underflow 0
		.amdhsa_exception_fp_ieee_inexact 0
		.amdhsa_exception_int_div_zero 0
	.end_amdhsa_kernel
	.section	.text._ZN9rocsparseL23sddmm_ell_sample_kernelILi16ELi32EdidEEvT2_S1_PKT3_lS1_PS2_PKS1_21rocsparse_index_base_,"axG",@progbits,_ZN9rocsparseL23sddmm_ell_sample_kernelILi16ELi32EdidEEvT2_S1_PKT3_lS1_PS2_PKS1_21rocsparse_index_base_,comdat
.Lfunc_end12:
	.size	_ZN9rocsparseL23sddmm_ell_sample_kernelILi16ELi32EdidEEvT2_S1_PKT3_lS1_PS2_PKS1_21rocsparse_index_base_, .Lfunc_end12-_ZN9rocsparseL23sddmm_ell_sample_kernelILi16ELi32EdidEEvT2_S1_PKT3_lS1_PS2_PKS1_21rocsparse_index_base_
                                        ; -- End function
	.set _ZN9rocsparseL23sddmm_ell_sample_kernelILi16ELi32EdidEEvT2_S1_PKT3_lS1_PS2_PKS1_21rocsparse_index_base_.num_vgpr, 11
	.set _ZN9rocsparseL23sddmm_ell_sample_kernelILi16ELi32EdidEEvT2_S1_PKT3_lS1_PS2_PKS1_21rocsparse_index_base_.num_agpr, 0
	.set _ZN9rocsparseL23sddmm_ell_sample_kernelILi16ELi32EdidEEvT2_S1_PKT3_lS1_PS2_PKS1_21rocsparse_index_base_.numbered_sgpr, 20
	.set _ZN9rocsparseL23sddmm_ell_sample_kernelILi16ELi32EdidEEvT2_S1_PKT3_lS1_PS2_PKS1_21rocsparse_index_base_.num_named_barrier, 0
	.set _ZN9rocsparseL23sddmm_ell_sample_kernelILi16ELi32EdidEEvT2_S1_PKT3_lS1_PS2_PKS1_21rocsparse_index_base_.private_seg_size, 0
	.set _ZN9rocsparseL23sddmm_ell_sample_kernelILi16ELi32EdidEEvT2_S1_PKT3_lS1_PS2_PKS1_21rocsparse_index_base_.uses_vcc, 1
	.set _ZN9rocsparseL23sddmm_ell_sample_kernelILi16ELi32EdidEEvT2_S1_PKT3_lS1_PS2_PKS1_21rocsparse_index_base_.uses_flat_scratch, 0
	.set _ZN9rocsparseL23sddmm_ell_sample_kernelILi16ELi32EdidEEvT2_S1_PKT3_lS1_PS2_PKS1_21rocsparse_index_base_.has_dyn_sized_stack, 0
	.set _ZN9rocsparseL23sddmm_ell_sample_kernelILi16ELi32EdidEEvT2_S1_PKT3_lS1_PS2_PKS1_21rocsparse_index_base_.has_recursion, 0
	.set _ZN9rocsparseL23sddmm_ell_sample_kernelILi16ELi32EdidEEvT2_S1_PKT3_lS1_PS2_PKS1_21rocsparse_index_base_.has_indirect_call, 0
	.section	.AMDGPU.csdata,"",@progbits
; Kernel info:
; codeLenInByte = 304
; TotalNumSgprs: 24
; NumVgprs: 11
; ScratchSize: 0
; MemoryBound: 0
; FloatMode: 240
; IeeeMode: 1
; LDSByteSize: 0 bytes/workgroup (compile time only)
; SGPRBlocks: 2
; VGPRBlocks: 2
; NumSGPRsForWavesPerEU: 24
; NumVGPRsForWavesPerEU: 11
; Occupancy: 10
; WaveLimiterHint : 1
; COMPUTE_PGM_RSRC2:SCRATCH_EN: 0
; COMPUTE_PGM_RSRC2:USER_SGPR: 6
; COMPUTE_PGM_RSRC2:TRAP_HANDLER: 0
; COMPUTE_PGM_RSRC2:TGID_X_EN: 1
; COMPUTE_PGM_RSRC2:TGID_Y_EN: 0
; COMPUTE_PGM_RSRC2:TGID_Z_EN: 0
; COMPUTE_PGM_RSRC2:TIDIG_COMP_CNT: 0
	.section	.text._ZN9rocsparseL23sddmm_ell_sample_kernelILi16ELi64EdidEEvT2_S1_PKT3_lS1_PS2_PKS1_21rocsparse_index_base_,"axG",@progbits,_ZN9rocsparseL23sddmm_ell_sample_kernelILi16ELi64EdidEEvT2_S1_PKT3_lS1_PS2_PKS1_21rocsparse_index_base_,comdat
	.globl	_ZN9rocsparseL23sddmm_ell_sample_kernelILi16ELi64EdidEEvT2_S1_PKT3_lS1_PS2_PKS1_21rocsparse_index_base_ ; -- Begin function _ZN9rocsparseL23sddmm_ell_sample_kernelILi16ELi64EdidEEvT2_S1_PKT3_lS1_PS2_PKS1_21rocsparse_index_base_
	.p2align	8
	.type	_ZN9rocsparseL23sddmm_ell_sample_kernelILi16ELi64EdidEEvT2_S1_PKT3_lS1_PS2_PKS1_21rocsparse_index_base_,@function
_ZN9rocsparseL23sddmm_ell_sample_kernelILi16ELi64EdidEEvT2_S1_PKT3_lS1_PS2_PKS1_21rocsparse_index_base_: ; @_ZN9rocsparseL23sddmm_ell_sample_kernelILi16ELi64EdidEEvT2_S1_PKT3_lS1_PS2_PKS1_21rocsparse_index_base_
; %bb.0:
	s_load_dword s0, s[4:5], 0x18
	v_lshrrev_b32_e32 v1, 6, v0
	v_lshl_or_b32 v1, s6, 4, v1
	s_waitcnt lgkmcnt(0)
	v_cmp_gt_u32_e32 vcc, s0, v1
	s_and_saveexec_b64 s[0:1], vcc
	s_cbranch_execz .LBB13_6
; %bb.1:
	s_load_dwordx2 s[2:3], s[4:5], 0x0
	v_and_b32_e32 v4, 63, v0
	s_waitcnt lgkmcnt(0)
	v_cmp_gt_i32_e32 vcc, s2, v4
	s_and_b64 exec, exec, vcc
	s_cbranch_execz .LBB13_6
; %bb.2:
	s_load_dwordx4 s[16:19], s[4:5], 0x8
	s_load_dwordx4 s[8:11], s[4:5], 0x20
	s_load_dword s12, s[4:5], 0x30
	v_mul_lo_u32 v5, v1, s2
	v_and_b32_e32 v0, 63, v0
	v_lshlrev_b32_e32 v0, 3, v0
	s_waitcnt lgkmcnt(0)
	v_mov_b32_e32 v3, s17
	v_add_co_u32_e32 v2, vcc, s16, v0
	s_lshl_b64 s[4:5], s[18:19], 3
	v_mov_b32_e32 v1, 0
	v_addc_co_u32_e32 v3, vcc, 0, v3, vcc
	s_mov_b64 s[6:7], 0
	v_mov_b32_e32 v6, s11
	s_branch .LBB13_4
.LBB13_3:                               ;   in Loop: Header=BB13_4 Depth=1
	s_or_b64 exec, exec, s[0:1]
	v_add_u32_e32 v4, 64, v4
	v_add_co_u32_e32 v2, vcc, 0x200, v2
	v_cmp_le_i32_e64 s[0:1], s2, v4
	s_or_b64 s[6:7], s[0:1], s[6:7]
	v_addc_co_u32_e32 v3, vcc, 0, v3, vcc
	s_andn2_b64 exec, exec, s[6:7]
	s_cbranch_execz .LBB13_6
.LBB13_4:                               ; =>This Inner Loop Header: Depth=1
	v_add_u32_e32 v0, v5, v4
	v_lshlrev_b64 v[7:8], 2, v[0:1]
	v_add_co_u32_e32 v7, vcc, s10, v7
	v_addc_co_u32_e32 v8, vcc, v6, v8, vcc
	global_load_dword v7, v[7:8], off
	s_waitcnt vmcnt(0)
	v_subrev_u32_e32 v7, s12, v7
	v_cmp_lt_i32_e32 vcc, -1, v7
	v_cmp_gt_i32_e64 s[0:1], s3, v7
	s_and_b64 s[14:15], vcc, s[0:1]
	s_and_saveexec_b64 s[0:1], s[14:15]
	s_cbranch_execz .LBB13_3
; %bb.5:                                ;   in Loop: Header=BB13_4 Depth=1
	v_mad_u64_u32 v[8:9], s[14:15], s4, v7, v[2:3]
	v_mad_u64_u32 v[9:10], s[14:15], s5, v7, v[9:10]
	global_load_dwordx2 v[7:8], v[8:9], off
	v_lshlrev_b64 v[9:10], 3, v[0:1]
	v_mov_b32_e32 v0, s9
	v_add_co_u32_e32 v9, vcc, s8, v9
	v_addc_co_u32_e32 v10, vcc, v0, v10, vcc
	s_waitcnt vmcnt(0)
	global_store_dwordx2 v[9:10], v[7:8], off
	s_branch .LBB13_3
.LBB13_6:
	s_endpgm
	.section	.rodata,"a",@progbits
	.p2align	6, 0x0
	.amdhsa_kernel _ZN9rocsparseL23sddmm_ell_sample_kernelILi16ELi64EdidEEvT2_S1_PKT3_lS1_PS2_PKS1_21rocsparse_index_base_
		.amdhsa_group_segment_fixed_size 0
		.amdhsa_private_segment_fixed_size 0
		.amdhsa_kernarg_size 52
		.amdhsa_user_sgpr_count 6
		.amdhsa_user_sgpr_private_segment_buffer 1
		.amdhsa_user_sgpr_dispatch_ptr 0
		.amdhsa_user_sgpr_queue_ptr 0
		.amdhsa_user_sgpr_kernarg_segment_ptr 1
		.amdhsa_user_sgpr_dispatch_id 0
		.amdhsa_user_sgpr_flat_scratch_init 0
		.amdhsa_user_sgpr_private_segment_size 0
		.amdhsa_uses_dynamic_stack 0
		.amdhsa_system_sgpr_private_segment_wavefront_offset 0
		.amdhsa_system_sgpr_workgroup_id_x 1
		.amdhsa_system_sgpr_workgroup_id_y 0
		.amdhsa_system_sgpr_workgroup_id_z 0
		.amdhsa_system_sgpr_workgroup_info 0
		.amdhsa_system_vgpr_workitem_id 0
		.amdhsa_next_free_vgpr 11
		.amdhsa_next_free_sgpr 20
		.amdhsa_reserve_vcc 1
		.amdhsa_reserve_flat_scratch 0
		.amdhsa_float_round_mode_32 0
		.amdhsa_float_round_mode_16_64 0
		.amdhsa_float_denorm_mode_32 3
		.amdhsa_float_denorm_mode_16_64 3
		.amdhsa_dx10_clamp 1
		.amdhsa_ieee_mode 1
		.amdhsa_fp16_overflow 0
		.amdhsa_exception_fp_ieee_invalid_op 0
		.amdhsa_exception_fp_denorm_src 0
		.amdhsa_exception_fp_ieee_div_zero 0
		.amdhsa_exception_fp_ieee_overflow 0
		.amdhsa_exception_fp_ieee_underflow 0
		.amdhsa_exception_fp_ieee_inexact 0
		.amdhsa_exception_int_div_zero 0
	.end_amdhsa_kernel
	.section	.text._ZN9rocsparseL23sddmm_ell_sample_kernelILi16ELi64EdidEEvT2_S1_PKT3_lS1_PS2_PKS1_21rocsparse_index_base_,"axG",@progbits,_ZN9rocsparseL23sddmm_ell_sample_kernelILi16ELi64EdidEEvT2_S1_PKT3_lS1_PS2_PKS1_21rocsparse_index_base_,comdat
.Lfunc_end13:
	.size	_ZN9rocsparseL23sddmm_ell_sample_kernelILi16ELi64EdidEEvT2_S1_PKT3_lS1_PS2_PKS1_21rocsparse_index_base_, .Lfunc_end13-_ZN9rocsparseL23sddmm_ell_sample_kernelILi16ELi64EdidEEvT2_S1_PKT3_lS1_PS2_PKS1_21rocsparse_index_base_
                                        ; -- End function
	.set _ZN9rocsparseL23sddmm_ell_sample_kernelILi16ELi64EdidEEvT2_S1_PKT3_lS1_PS2_PKS1_21rocsparse_index_base_.num_vgpr, 11
	.set _ZN9rocsparseL23sddmm_ell_sample_kernelILi16ELi64EdidEEvT2_S1_PKT3_lS1_PS2_PKS1_21rocsparse_index_base_.num_agpr, 0
	.set _ZN9rocsparseL23sddmm_ell_sample_kernelILi16ELi64EdidEEvT2_S1_PKT3_lS1_PS2_PKS1_21rocsparse_index_base_.numbered_sgpr, 20
	.set _ZN9rocsparseL23sddmm_ell_sample_kernelILi16ELi64EdidEEvT2_S1_PKT3_lS1_PS2_PKS1_21rocsparse_index_base_.num_named_barrier, 0
	.set _ZN9rocsparseL23sddmm_ell_sample_kernelILi16ELi64EdidEEvT2_S1_PKT3_lS1_PS2_PKS1_21rocsparse_index_base_.private_seg_size, 0
	.set _ZN9rocsparseL23sddmm_ell_sample_kernelILi16ELi64EdidEEvT2_S1_PKT3_lS1_PS2_PKS1_21rocsparse_index_base_.uses_vcc, 1
	.set _ZN9rocsparseL23sddmm_ell_sample_kernelILi16ELi64EdidEEvT2_S1_PKT3_lS1_PS2_PKS1_21rocsparse_index_base_.uses_flat_scratch, 0
	.set _ZN9rocsparseL23sddmm_ell_sample_kernelILi16ELi64EdidEEvT2_S1_PKT3_lS1_PS2_PKS1_21rocsparse_index_base_.has_dyn_sized_stack, 0
	.set _ZN9rocsparseL23sddmm_ell_sample_kernelILi16ELi64EdidEEvT2_S1_PKT3_lS1_PS2_PKS1_21rocsparse_index_base_.has_recursion, 0
	.set _ZN9rocsparseL23sddmm_ell_sample_kernelILi16ELi64EdidEEvT2_S1_PKT3_lS1_PS2_PKS1_21rocsparse_index_base_.has_indirect_call, 0
	.section	.AMDGPU.csdata,"",@progbits
; Kernel info:
; codeLenInByte = 304
; TotalNumSgprs: 24
; NumVgprs: 11
; ScratchSize: 0
; MemoryBound: 0
; FloatMode: 240
; IeeeMode: 1
; LDSByteSize: 0 bytes/workgroup (compile time only)
; SGPRBlocks: 2
; VGPRBlocks: 2
; NumSGPRsForWavesPerEU: 24
; NumVGPRsForWavesPerEU: 11
; Occupancy: 10
; WaveLimiterHint : 1
; COMPUTE_PGM_RSRC2:SCRATCH_EN: 0
; COMPUTE_PGM_RSRC2:USER_SGPR: 6
; COMPUTE_PGM_RSRC2:TRAP_HANDLER: 0
; COMPUTE_PGM_RSRC2:TGID_X_EN: 1
; COMPUTE_PGM_RSRC2:TGID_Y_EN: 0
; COMPUTE_PGM_RSRC2:TGID_Z_EN: 0
; COMPUTE_PGM_RSRC2:TIDIG_COMP_CNT: 0
	.section	.text._ZN9rocsparseL16sddmm_ell_kernelILi512ELi8EdiidddEEv20rocsparse_operation_S1_16rocsparse_order_S2_T3_S3_S3_T2_NS_24const_host_device_scalarIT1_EEPKT4_lPKT5_lS7_PT6_PKS3_21rocsparse_index_base_b,"axG",@progbits,_ZN9rocsparseL16sddmm_ell_kernelILi512ELi8EdiidddEEv20rocsparse_operation_S1_16rocsparse_order_S2_T3_S3_S3_T2_NS_24const_host_device_scalarIT1_EEPKT4_lPKT5_lS7_PT6_PKS3_21rocsparse_index_base_b,comdat
	.globl	_ZN9rocsparseL16sddmm_ell_kernelILi512ELi8EdiidddEEv20rocsparse_operation_S1_16rocsparse_order_S2_T3_S3_S3_T2_NS_24const_host_device_scalarIT1_EEPKT4_lPKT5_lS7_PT6_PKS3_21rocsparse_index_base_b ; -- Begin function _ZN9rocsparseL16sddmm_ell_kernelILi512ELi8EdiidddEEv20rocsparse_operation_S1_16rocsparse_order_S2_T3_S3_S3_T2_NS_24const_host_device_scalarIT1_EEPKT4_lPKT5_lS7_PT6_PKS3_21rocsparse_index_base_b
	.p2align	8
	.type	_ZN9rocsparseL16sddmm_ell_kernelILi512ELi8EdiidddEEv20rocsparse_operation_S1_16rocsparse_order_S2_T3_S3_S3_T2_NS_24const_host_device_scalarIT1_EEPKT4_lPKT5_lS7_PT6_PKS3_21rocsparse_index_base_b,@function
_ZN9rocsparseL16sddmm_ell_kernelILi512ELi8EdiidddEEv20rocsparse_operation_S1_16rocsparse_order_S2_T3_S3_S3_T2_NS_24const_host_device_scalarIT1_EEPKT4_lPKT5_lS7_PT6_PKS3_21rocsparse_index_base_b: ; @_ZN9rocsparseL16sddmm_ell_kernelILi512ELi8EdiidddEEv20rocsparse_operation_S1_16rocsparse_order_S2_T3_S3_S3_T2_NS_24const_host_device_scalarIT1_EEPKT4_lPKT5_lS7_PT6_PKS3_21rocsparse_index_base_b
; %bb.0:
	s_load_dwordx2 s[2:3], s[4:5], 0x60
	s_load_dwordx2 s[12:13], s[4:5], 0x20
	s_load_dwordx4 s[8:11], s[4:5], 0x40
	s_waitcnt lgkmcnt(0)
	s_bitcmp1_b32 s3, 0
	s_cselect_b64 s[14:15], -1, 0
	v_mov_b32_e32 v1, s12
	s_xor_b64 s[0:1], s[14:15], -1
	s_and_b64 vcc, exec, s[14:15]
	v_mov_b32_e32 v2, s13
	s_cbranch_vccnz .LBB14_2
; %bb.1:
	v_mov_b32_e32 v1, s12
	v_mov_b32_e32 v2, s13
	flat_load_dwordx2 v[1:2], v[1:2]
.LBB14_2:
	v_mov_b32_e32 v3, s10
	s_andn2_b64 vcc, exec, s[0:1]
	v_mov_b32_e32 v4, s11
	s_cbranch_vccnz .LBB14_4
; %bb.3:
	v_mov_b32_e32 v3, s10
	v_mov_b32_e32 v4, s11
	flat_load_dwordx2 v[3:4], v[3:4]
.LBB14_4:
	s_waitcnt vmcnt(0) lgkmcnt(0)
	v_cmp_neq_f64_e32 vcc, 0, v[1:2]
	v_cmp_neq_f64_e64 s[0:1], 1.0, v[3:4]
	s_or_b64 s[0:1], vcc, s[0:1]
	s_and_saveexec_b64 s[10:11], s[0:1]
	s_cbranch_execz .LBB14_35
; %bb.5:
	s_load_dwordx2 s[10:11], s[4:5], 0x18
	v_lshrrev_b32_e32 v13, 3, v0
	v_lshl_or_b32 v5, s6, 6, v13
	s_waitcnt lgkmcnt(0)
	v_cmp_gt_i32_e32 vcc, s11, v5
	s_and_b64 exec, exec, vcc
	s_cbranch_execz .LBB14_35
; %bb.6:
	s_load_dwordx2 s[0:1], s[4:5], 0x58
	v_ashrrev_i32_e32 v6, 31, v5
	v_lshlrev_b64 v[7:8], 2, v[5:6]
	s_waitcnt lgkmcnt(0)
	v_mov_b32_e32 v9, s1
	v_add_co_u32_e32 v7, vcc, s0, v7
	v_addc_co_u32_e32 v8, vcc, v9, v8, vcc
	global_load_dword v7, v[7:8], off
	s_waitcnt vmcnt(0)
	v_subrev_u32_e32 v7, s2, v7
	v_cmp_lt_i32_e32 vcc, -1, v7
	s_and_b64 exec, exec, vcc
	s_cbranch_execz .LBB14_35
; %bb.7:
	s_load_dwordx4 s[0:3], s[4:5], 0x0
	s_load_dword s11, s[4:5], 0x10
	v_sub_u32_e32 v10, 0, v5
	v_max_i32_e32 v10, v5, v10
	s_load_dwordx2 s[14:15], s[4:5], 0x30
	s_waitcnt lgkmcnt(0)
	s_cmp_eq_u32 s2, 1
	s_cselect_b64 s[6:7], -1, 0
	s_cmpk_eq_i32 s0, 0x6f
	s_cselect_b64 s[12:13], -1, 0
	s_cmpk_lg_i32 s0, 0x6f
	s_cselect_b64 s[16:17], -1, 0
	s_abs_i32 s0, s11
	v_cvt_f32_u32_e32 v8, s0
	s_sub_i32 s11, 0, s0
	s_cmp_lg_u32 s2, 1
	v_rcp_iflag_f32_e32 v8, v8
	v_mul_f32_e32 v8, 0x4f7ffffe, v8
	v_cvt_u32_f32_e32 v8, v8
	v_mul_lo_u32 v9, s11, v8
	v_mul_hi_u32 v9, v8, v9
	v_add_u32_e32 v8, v8, v9
	v_mul_hi_u32 v8, v10, v8
	v_mul_lo_u32 v8, v8, s0
	v_sub_u32_e32 v8, v10, v8
	v_subrev_u32_e32 v9, s0, v8
	v_cmp_le_u32_e32 vcc, s0, v8
	v_cndmask_b32_e32 v8, v8, v9, vcc
	v_subrev_u32_e32 v9, s0, v8
	v_cmp_le_u32_e32 vcc, s0, v8
	v_cndmask_b32_e32 v8, v8, v9, vcc
	v_xor_b32_e32 v8, v8, v6
	v_sub_u32_e32 v11, v8, v6
	v_ashrrev_i32_e32 v12, 31, v11
	s_cbranch_scc0 .LBB14_11
; %bb.8:
	v_mov_b32_e32 v9, v11
	s_andn2_b64 vcc, exec, s[12:13]
	v_mov_b32_e32 v10, v12
	s_cbranch_vccnz .LBB14_10
; %bb.9:
	v_mul_lo_u32 v8, s15, v11
	v_mul_lo_u32 v14, s14, v12
	v_mad_u64_u32 v[9:10], s[18:19], s14, v11, 0
	v_add3_u32 v10, v10, v14, v8
.LBB14_10:
	s_cbranch_execz .LBB14_12
	s_branch .LBB14_15
.LBB14_11:
                                        ; implicit-def: $vgpr9_vgpr10
.LBB14_12:
	s_andn2_b64 vcc, exec, s[16:17]
	s_cbranch_vccnz .LBB14_14
; %bb.13:
	v_mul_lo_u32 v8, s15, v11
	v_mul_lo_u32 v9, s14, v12
	v_mad_u64_u32 v[11:12], s[16:17], s14, v11, 0
	v_add3_u32 v12, v12, v9, v8
.LBB14_14:
	v_mov_b32_e32 v9, v11
	v_mov_b32_e32 v10, v12
.LBB14_15:
	s_cmp_eq_u32 s3, 1
	s_cselect_b64 s[18:19], -1, 0
	s_cmpk_eq_i32 s1, 0x6f
	s_cselect_b64 s[20:21], -1, 0
	s_cmpk_lg_i32 s1, 0x6f
	s_cselect_b64 s[0:1], -1, 0
	s_cmp_lg_u32 s3, 1
	v_mov_b32_e32 v8, 0
	s_cbranch_scc0 .LBB14_19
; %bb.16:
	v_mov_b32_e32 v12, v8
	s_andn2_b64 vcc, exec, s[0:1]
	v_mov_b32_e32 v11, v7
	s_cbranch_vccnz .LBB14_18
; %bb.17:
	v_mad_u64_u32 v[11:12], s[0:1], s8, v7, 0
	v_mad_u64_u32 v[14:15], s[0:1], s9, v7, v[12:13]
	v_mov_b32_e32 v12, v14
.LBB14_18:
	s_cbranch_execz .LBB14_20
	s_branch .LBB14_23
.LBB14_19:
                                        ; implicit-def: $vgpr11_vgpr12
.LBB14_20:
	s_andn2_b64 vcc, exec, s[20:21]
	s_cbranch_vccnz .LBB14_22
; %bb.21:
	v_mad_u64_u32 v[11:12], s[0:1], s8, v7, 0
	v_mov_b32_e32 v8, v12
	v_mad_u64_u32 v[7:8], s[0:1], s9, v7, v[8:9]
	v_mov_b32_e32 v12, v7
	v_mov_b32_e32 v7, v11
	;; [unrolled: 1-line block ×3, first 2 shown]
.LBB14_22:
	v_mov_b32_e32 v12, v8
	v_mov_b32_e32 v11, v7
.LBB14_23:
	s_load_dwordx2 s[2:3], s[4:5], 0x50
	v_and_b32_e32 v14, 7, v0
	v_mov_b32_e32 v7, 0
	v_mov_b32_e32 v8, 0
	v_cmp_gt_i32_e32 vcc, s10, v14
	s_and_saveexec_b64 s[16:17], vcc
	s_cbranch_execz .LBB14_27
; %bb.24:
	s_xor_b64 s[0:1], s[12:13], s[6:7]
	s_and_b64 s[0:1], s[0:1], exec
	s_cselect_b32 s0, 1, s14
	v_and_b32_e32 v17, 7, v0
	v_mad_u64_u32 v[7:8], s[6:7], s0, v17, 0
	s_cselect_b32 s1, 0, s15
	s_load_dwordx2 s[6:7], s[4:5], 0x28
	s_load_dwordx2 s[12:13], s[4:5], 0x38
	v_mov_b32_e32 v0, v8
	v_mad_u64_u32 v[15:16], s[14:15], s1, v17, v[0:1]
	s_xor_b64 s[4:5], s[20:21], s[18:19]
	s_and_b64 s[4:5], s[4:5], exec
	s_cselect_b32 s8, s8, 1
	v_mov_b32_e32 v8, v15
	v_mad_u64_u32 v[15:16], s[4:5], s8, v17, 0
	v_lshlrev_b64 v[7:8], 3, v[7:8]
	v_lshlrev_b64 v[9:10], 3, v[9:10]
	s_cselect_b32 s9, s9, 0
	v_add_co_u32_e32 v9, vcc, v7, v9
	v_mov_b32_e32 v0, v16
	v_addc_co_u32_e32 v10, vcc, v8, v10, vcc
	v_mad_u64_u32 v[7:8], s[4:5], s9, v17, v[0:1]
	s_waitcnt lgkmcnt(0)
	v_mov_b32_e32 v18, s7
	v_add_co_u32_e32 v9, vcc, s6, v9
	v_mov_b32_e32 v16, v7
	v_lshlrev_b64 v[7:8], 3, v[15:16]
	v_lshlrev_b64 v[11:12], 3, v[11:12]
	v_addc_co_u32_e32 v10, vcc, v18, v10, vcc
	v_add_co_u32_e32 v0, vcc, v7, v11
	v_addc_co_u32_e32 v7, vcc, v8, v12, vcc
	v_mov_b32_e32 v8, s13
	v_add_co_u32_e32 v11, vcc, s12, v0
	s_lshl_b64 s[4:5], s[0:1], 6
	v_addc_co_u32_e32 v12, vcc, v8, v7, vcc
	s_lshl_b64 s[6:7], s[8:9], 6
	v_mov_b32_e32 v7, 0
	v_mov_b32_e32 v8, 0
	s_mov_b64 s[8:9], 0
	v_mov_b32_e32 v0, s5
	v_mov_b32_e32 v15, s7
	;; [unrolled: 1-line block ×3, first 2 shown]
.LBB14_25:                              ; =>This Inner Loop Header: Depth=1
	global_load_dwordx2 v[17:18], v[9:10], off
	global_load_dwordx2 v[19:20], v[11:12], off
	v_add_co_u32_e32 v9, vcc, s4, v9
	v_add_u32_e32 v16, 8, v16
	v_addc_co_u32_e32 v10, vcc, v10, v0, vcc
	v_add_co_u32_e32 v11, vcc, s6, v11
	v_cmp_le_i32_e64 s[0:1], s10, v16
	s_or_b64 s[8:9], s[0:1], s[8:9]
	v_addc_co_u32_e32 v12, vcc, v12, v15, vcc
	s_waitcnt vmcnt(0)
	v_fma_f64 v[7:8], v[17:18], v[19:20], v[7:8]
	s_andn2_b64 exec, exec, s[8:9]
	s_cbranch_execnz .LBB14_25
; %bb.26:
	s_or_b64 exec, exec, s[8:9]
.LBB14_27:
	s_or_b64 exec, exec, s[16:17]
	v_lshlrev_b32_e32 v0, 6, v13
	v_lshl_or_b32 v9, v14, 3, v0
	v_cmp_gt_u32_e32 vcc, 4, v14
	ds_write_b64 v9, v[7:8]
	s_waitcnt lgkmcnt(0)
	s_barrier
	s_and_saveexec_b64 s[0:1], vcc
	s_cbranch_execz .LBB14_29
; %bb.28:
	ds_read2_b64 v[10:13], v9 offset1:4
	s_waitcnt lgkmcnt(0)
	v_add_f64 v[7:8], v[12:13], v[10:11]
	ds_write_b64 v9, v[7:8]
.LBB14_29:
	s_or_b64 exec, exec, s[0:1]
	v_cmp_gt_u32_e32 vcc, 2, v14
	s_waitcnt lgkmcnt(0)
	s_barrier
	s_and_saveexec_b64 s[0:1], vcc
	s_cbranch_execz .LBB14_31
; %bb.30:
	ds_read2_b64 v[10:13], v9 offset1:2
	s_waitcnt lgkmcnt(0)
	v_add_f64 v[7:8], v[12:13], v[10:11]
	ds_write_b64 v9, v[7:8]
.LBB14_31:
	s_or_b64 exec, exec, s[0:1]
	v_cmp_eq_u32_e32 vcc, 0, v14
	s_waitcnt lgkmcnt(0)
	s_barrier
	s_and_saveexec_b64 s[0:1], vcc
	s_cbranch_execz .LBB14_33
; %bb.32:
	ds_read2_b64 v[10:13], v9 offset1:1
	s_waitcnt lgkmcnt(0)
	v_add_f64 v[7:8], v[12:13], v[10:11]
	ds_write_b64 v9, v[7:8]
.LBB14_33:
	s_or_b64 exec, exec, s[0:1]
	s_waitcnt lgkmcnt(0)
	s_barrier
	s_and_b64 exec, exec, vcc
	s_cbranch_execz .LBB14_35
; %bb.34:
	v_lshlrev_b64 v[5:6], 3, v[5:6]
	v_mov_b32_e32 v7, s3
	v_add_co_u32_e32 v5, vcc, s2, v5
	v_addc_co_u32_e32 v6, vcc, v7, v6, vcc
	global_load_dwordx2 v[7:8], v[5:6], off
	ds_read_b64 v[9:10], v0
	s_waitcnt lgkmcnt(0)
	v_mul_f64 v[0:1], v[1:2], v[9:10]
	s_waitcnt vmcnt(0)
	v_fma_f64 v[0:1], v[3:4], v[7:8], v[0:1]
	global_store_dwordx2 v[5:6], v[0:1], off
.LBB14_35:
	s_endpgm
	.section	.rodata,"a",@progbits
	.p2align	6, 0x0
	.amdhsa_kernel _ZN9rocsparseL16sddmm_ell_kernelILi512ELi8EdiidddEEv20rocsparse_operation_S1_16rocsparse_order_S2_T3_S3_S3_T2_NS_24const_host_device_scalarIT1_EEPKT4_lPKT5_lS7_PT6_PKS3_21rocsparse_index_base_b
		.amdhsa_group_segment_fixed_size 4096
		.amdhsa_private_segment_fixed_size 0
		.amdhsa_kernarg_size 104
		.amdhsa_user_sgpr_count 6
		.amdhsa_user_sgpr_private_segment_buffer 1
		.amdhsa_user_sgpr_dispatch_ptr 0
		.amdhsa_user_sgpr_queue_ptr 0
		.amdhsa_user_sgpr_kernarg_segment_ptr 1
		.amdhsa_user_sgpr_dispatch_id 0
		.amdhsa_user_sgpr_flat_scratch_init 0
		.amdhsa_user_sgpr_private_segment_size 0
		.amdhsa_uses_dynamic_stack 0
		.amdhsa_system_sgpr_private_segment_wavefront_offset 0
		.amdhsa_system_sgpr_workgroup_id_x 1
		.amdhsa_system_sgpr_workgroup_id_y 0
		.amdhsa_system_sgpr_workgroup_id_z 0
		.amdhsa_system_sgpr_workgroup_info 0
		.amdhsa_system_vgpr_workitem_id 0
		.amdhsa_next_free_vgpr 21
		.amdhsa_next_free_sgpr 22
		.amdhsa_reserve_vcc 1
		.amdhsa_reserve_flat_scratch 0
		.amdhsa_float_round_mode_32 0
		.amdhsa_float_round_mode_16_64 0
		.amdhsa_float_denorm_mode_32 3
		.amdhsa_float_denorm_mode_16_64 3
		.amdhsa_dx10_clamp 1
		.amdhsa_ieee_mode 1
		.amdhsa_fp16_overflow 0
		.amdhsa_exception_fp_ieee_invalid_op 0
		.amdhsa_exception_fp_denorm_src 0
		.amdhsa_exception_fp_ieee_div_zero 0
		.amdhsa_exception_fp_ieee_overflow 0
		.amdhsa_exception_fp_ieee_underflow 0
		.amdhsa_exception_fp_ieee_inexact 0
		.amdhsa_exception_int_div_zero 0
	.end_amdhsa_kernel
	.section	.text._ZN9rocsparseL16sddmm_ell_kernelILi512ELi8EdiidddEEv20rocsparse_operation_S1_16rocsparse_order_S2_T3_S3_S3_T2_NS_24const_host_device_scalarIT1_EEPKT4_lPKT5_lS7_PT6_PKS3_21rocsparse_index_base_b,"axG",@progbits,_ZN9rocsparseL16sddmm_ell_kernelILi512ELi8EdiidddEEv20rocsparse_operation_S1_16rocsparse_order_S2_T3_S3_S3_T2_NS_24const_host_device_scalarIT1_EEPKT4_lPKT5_lS7_PT6_PKS3_21rocsparse_index_base_b,comdat
.Lfunc_end14:
	.size	_ZN9rocsparseL16sddmm_ell_kernelILi512ELi8EdiidddEEv20rocsparse_operation_S1_16rocsparse_order_S2_T3_S3_S3_T2_NS_24const_host_device_scalarIT1_EEPKT4_lPKT5_lS7_PT6_PKS3_21rocsparse_index_base_b, .Lfunc_end14-_ZN9rocsparseL16sddmm_ell_kernelILi512ELi8EdiidddEEv20rocsparse_operation_S1_16rocsparse_order_S2_T3_S3_S3_T2_NS_24const_host_device_scalarIT1_EEPKT4_lPKT5_lS7_PT6_PKS3_21rocsparse_index_base_b
                                        ; -- End function
	.set _ZN9rocsparseL16sddmm_ell_kernelILi512ELi8EdiidddEEv20rocsparse_operation_S1_16rocsparse_order_S2_T3_S3_S3_T2_NS_24const_host_device_scalarIT1_EEPKT4_lPKT5_lS7_PT6_PKS3_21rocsparse_index_base_b.num_vgpr, 21
	.set _ZN9rocsparseL16sddmm_ell_kernelILi512ELi8EdiidddEEv20rocsparse_operation_S1_16rocsparse_order_S2_T3_S3_S3_T2_NS_24const_host_device_scalarIT1_EEPKT4_lPKT5_lS7_PT6_PKS3_21rocsparse_index_base_b.num_agpr, 0
	.set _ZN9rocsparseL16sddmm_ell_kernelILi512ELi8EdiidddEEv20rocsparse_operation_S1_16rocsparse_order_S2_T3_S3_S3_T2_NS_24const_host_device_scalarIT1_EEPKT4_lPKT5_lS7_PT6_PKS3_21rocsparse_index_base_b.numbered_sgpr, 22
	.set _ZN9rocsparseL16sddmm_ell_kernelILi512ELi8EdiidddEEv20rocsparse_operation_S1_16rocsparse_order_S2_T3_S3_S3_T2_NS_24const_host_device_scalarIT1_EEPKT4_lPKT5_lS7_PT6_PKS3_21rocsparse_index_base_b.num_named_barrier, 0
	.set _ZN9rocsparseL16sddmm_ell_kernelILi512ELi8EdiidddEEv20rocsparse_operation_S1_16rocsparse_order_S2_T3_S3_S3_T2_NS_24const_host_device_scalarIT1_EEPKT4_lPKT5_lS7_PT6_PKS3_21rocsparse_index_base_b.private_seg_size, 0
	.set _ZN9rocsparseL16sddmm_ell_kernelILi512ELi8EdiidddEEv20rocsparse_operation_S1_16rocsparse_order_S2_T3_S3_S3_T2_NS_24const_host_device_scalarIT1_EEPKT4_lPKT5_lS7_PT6_PKS3_21rocsparse_index_base_b.uses_vcc, 1
	.set _ZN9rocsparseL16sddmm_ell_kernelILi512ELi8EdiidddEEv20rocsparse_operation_S1_16rocsparse_order_S2_T3_S3_S3_T2_NS_24const_host_device_scalarIT1_EEPKT4_lPKT5_lS7_PT6_PKS3_21rocsparse_index_base_b.uses_flat_scratch, 0
	.set _ZN9rocsparseL16sddmm_ell_kernelILi512ELi8EdiidddEEv20rocsparse_operation_S1_16rocsparse_order_S2_T3_S3_S3_T2_NS_24const_host_device_scalarIT1_EEPKT4_lPKT5_lS7_PT6_PKS3_21rocsparse_index_base_b.has_dyn_sized_stack, 0
	.set _ZN9rocsparseL16sddmm_ell_kernelILi512ELi8EdiidddEEv20rocsparse_operation_S1_16rocsparse_order_S2_T3_S3_S3_T2_NS_24const_host_device_scalarIT1_EEPKT4_lPKT5_lS7_PT6_PKS3_21rocsparse_index_base_b.has_recursion, 0
	.set _ZN9rocsparseL16sddmm_ell_kernelILi512ELi8EdiidddEEv20rocsparse_operation_S1_16rocsparse_order_S2_T3_S3_S3_T2_NS_24const_host_device_scalarIT1_EEPKT4_lPKT5_lS7_PT6_PKS3_21rocsparse_index_base_b.has_indirect_call, 0
	.section	.AMDGPU.csdata,"",@progbits
; Kernel info:
; codeLenInByte = 1216
; TotalNumSgprs: 26
; NumVgprs: 21
; ScratchSize: 0
; MemoryBound: 0
; FloatMode: 240
; IeeeMode: 1
; LDSByteSize: 4096 bytes/workgroup (compile time only)
; SGPRBlocks: 3
; VGPRBlocks: 5
; NumSGPRsForWavesPerEU: 26
; NumVGPRsForWavesPerEU: 21
; Occupancy: 10
; WaveLimiterHint : 0
; COMPUTE_PGM_RSRC2:SCRATCH_EN: 0
; COMPUTE_PGM_RSRC2:USER_SGPR: 6
; COMPUTE_PGM_RSRC2:TRAP_HANDLER: 0
; COMPUTE_PGM_RSRC2:TGID_X_EN: 1
; COMPUTE_PGM_RSRC2:TGID_Y_EN: 0
; COMPUTE_PGM_RSRC2:TGID_Z_EN: 0
; COMPUTE_PGM_RSRC2:TIDIG_COMP_CNT: 0
	.section	.text._ZN9rocsparseL16sddmm_ell_kernelILi512ELi4EdiidddEEv20rocsparse_operation_S1_16rocsparse_order_S2_T3_S3_S3_T2_NS_24const_host_device_scalarIT1_EEPKT4_lPKT5_lS7_PT6_PKS3_21rocsparse_index_base_b,"axG",@progbits,_ZN9rocsparseL16sddmm_ell_kernelILi512ELi4EdiidddEEv20rocsparse_operation_S1_16rocsparse_order_S2_T3_S3_S3_T2_NS_24const_host_device_scalarIT1_EEPKT4_lPKT5_lS7_PT6_PKS3_21rocsparse_index_base_b,comdat
	.globl	_ZN9rocsparseL16sddmm_ell_kernelILi512ELi4EdiidddEEv20rocsparse_operation_S1_16rocsparse_order_S2_T3_S3_S3_T2_NS_24const_host_device_scalarIT1_EEPKT4_lPKT5_lS7_PT6_PKS3_21rocsparse_index_base_b ; -- Begin function _ZN9rocsparseL16sddmm_ell_kernelILi512ELi4EdiidddEEv20rocsparse_operation_S1_16rocsparse_order_S2_T3_S3_S3_T2_NS_24const_host_device_scalarIT1_EEPKT4_lPKT5_lS7_PT6_PKS3_21rocsparse_index_base_b
	.p2align	8
	.type	_ZN9rocsparseL16sddmm_ell_kernelILi512ELi4EdiidddEEv20rocsparse_operation_S1_16rocsparse_order_S2_T3_S3_S3_T2_NS_24const_host_device_scalarIT1_EEPKT4_lPKT5_lS7_PT6_PKS3_21rocsparse_index_base_b,@function
_ZN9rocsparseL16sddmm_ell_kernelILi512ELi4EdiidddEEv20rocsparse_operation_S1_16rocsparse_order_S2_T3_S3_S3_T2_NS_24const_host_device_scalarIT1_EEPKT4_lPKT5_lS7_PT6_PKS3_21rocsparse_index_base_b: ; @_ZN9rocsparseL16sddmm_ell_kernelILi512ELi4EdiidddEEv20rocsparse_operation_S1_16rocsparse_order_S2_T3_S3_S3_T2_NS_24const_host_device_scalarIT1_EEPKT4_lPKT5_lS7_PT6_PKS3_21rocsparse_index_base_b
; %bb.0:
	s_load_dwordx2 s[2:3], s[4:5], 0x60
	s_load_dwordx2 s[12:13], s[4:5], 0x20
	s_load_dwordx4 s[8:11], s[4:5], 0x40
	s_waitcnt lgkmcnt(0)
	s_bitcmp1_b32 s3, 0
	s_cselect_b64 s[14:15], -1, 0
	v_mov_b32_e32 v1, s12
	s_xor_b64 s[0:1], s[14:15], -1
	s_and_b64 vcc, exec, s[14:15]
	v_mov_b32_e32 v2, s13
	s_cbranch_vccnz .LBB15_2
; %bb.1:
	v_mov_b32_e32 v1, s12
	v_mov_b32_e32 v2, s13
	flat_load_dwordx2 v[1:2], v[1:2]
.LBB15_2:
	v_mov_b32_e32 v3, s10
	s_andn2_b64 vcc, exec, s[0:1]
	v_mov_b32_e32 v4, s11
	s_cbranch_vccnz .LBB15_4
; %bb.3:
	v_mov_b32_e32 v3, s10
	v_mov_b32_e32 v4, s11
	flat_load_dwordx2 v[3:4], v[3:4]
.LBB15_4:
	s_waitcnt vmcnt(0) lgkmcnt(0)
	v_cmp_neq_f64_e32 vcc, 0, v[1:2]
	v_cmp_neq_f64_e64 s[0:1], 1.0, v[3:4]
	s_or_b64 s[0:1], vcc, s[0:1]
	s_and_saveexec_b64 s[10:11], s[0:1]
	s_cbranch_execz .LBB15_33
; %bb.5:
	s_load_dwordx2 s[10:11], s[4:5], 0x18
	v_lshrrev_b32_e32 v13, 2, v0
	v_lshl_or_b32 v5, s6, 7, v13
	s_waitcnt lgkmcnt(0)
	v_cmp_gt_i32_e32 vcc, s11, v5
	s_and_b64 exec, exec, vcc
	s_cbranch_execz .LBB15_33
; %bb.6:
	s_load_dwordx2 s[0:1], s[4:5], 0x58
	v_ashrrev_i32_e32 v6, 31, v5
	v_lshlrev_b64 v[7:8], 2, v[5:6]
	s_waitcnt lgkmcnt(0)
	v_mov_b32_e32 v9, s1
	v_add_co_u32_e32 v7, vcc, s0, v7
	v_addc_co_u32_e32 v8, vcc, v9, v8, vcc
	global_load_dword v7, v[7:8], off
	s_waitcnt vmcnt(0)
	v_subrev_u32_e32 v7, s2, v7
	v_cmp_lt_i32_e32 vcc, -1, v7
	s_and_b64 exec, exec, vcc
	s_cbranch_execz .LBB15_33
; %bb.7:
	s_load_dwordx4 s[0:3], s[4:5], 0x0
	s_load_dword s11, s[4:5], 0x10
	v_sub_u32_e32 v10, 0, v5
	v_max_i32_e32 v10, v5, v10
	s_load_dwordx2 s[14:15], s[4:5], 0x30
	s_waitcnt lgkmcnt(0)
	s_cmp_eq_u32 s2, 1
	s_cselect_b64 s[6:7], -1, 0
	s_cmpk_eq_i32 s0, 0x6f
	s_cselect_b64 s[12:13], -1, 0
	s_cmpk_lg_i32 s0, 0x6f
	s_cselect_b64 s[16:17], -1, 0
	s_abs_i32 s0, s11
	v_cvt_f32_u32_e32 v8, s0
	s_sub_i32 s11, 0, s0
	s_cmp_lg_u32 s2, 1
	v_rcp_iflag_f32_e32 v8, v8
	v_mul_f32_e32 v8, 0x4f7ffffe, v8
	v_cvt_u32_f32_e32 v8, v8
	v_mul_lo_u32 v9, s11, v8
	v_mul_hi_u32 v9, v8, v9
	v_add_u32_e32 v8, v8, v9
	v_mul_hi_u32 v8, v10, v8
	v_mul_lo_u32 v8, v8, s0
	v_sub_u32_e32 v8, v10, v8
	v_subrev_u32_e32 v9, s0, v8
	v_cmp_le_u32_e32 vcc, s0, v8
	v_cndmask_b32_e32 v8, v8, v9, vcc
	v_subrev_u32_e32 v9, s0, v8
	v_cmp_le_u32_e32 vcc, s0, v8
	v_cndmask_b32_e32 v8, v8, v9, vcc
	v_xor_b32_e32 v8, v8, v6
	v_sub_u32_e32 v11, v8, v6
	v_ashrrev_i32_e32 v12, 31, v11
	s_cbranch_scc0 .LBB15_11
; %bb.8:
	v_mov_b32_e32 v9, v11
	s_andn2_b64 vcc, exec, s[12:13]
	v_mov_b32_e32 v10, v12
	s_cbranch_vccnz .LBB15_10
; %bb.9:
	v_mul_lo_u32 v8, s15, v11
	v_mul_lo_u32 v14, s14, v12
	v_mad_u64_u32 v[9:10], s[18:19], s14, v11, 0
	v_add3_u32 v10, v10, v14, v8
.LBB15_10:
	s_cbranch_execz .LBB15_12
	s_branch .LBB15_15
.LBB15_11:
                                        ; implicit-def: $vgpr9_vgpr10
.LBB15_12:
	s_andn2_b64 vcc, exec, s[16:17]
	s_cbranch_vccnz .LBB15_14
; %bb.13:
	v_mul_lo_u32 v8, s15, v11
	v_mul_lo_u32 v9, s14, v12
	v_mad_u64_u32 v[11:12], s[16:17], s14, v11, 0
	v_add3_u32 v12, v12, v9, v8
.LBB15_14:
	v_mov_b32_e32 v9, v11
	v_mov_b32_e32 v10, v12
.LBB15_15:
	s_cmp_eq_u32 s3, 1
	s_cselect_b64 s[18:19], -1, 0
	s_cmpk_eq_i32 s1, 0x6f
	s_cselect_b64 s[20:21], -1, 0
	s_cmpk_lg_i32 s1, 0x6f
	s_cselect_b64 s[0:1], -1, 0
	s_cmp_lg_u32 s3, 1
	v_mov_b32_e32 v8, 0
	s_cbranch_scc0 .LBB15_19
; %bb.16:
	v_mov_b32_e32 v12, v8
	s_andn2_b64 vcc, exec, s[0:1]
	v_mov_b32_e32 v11, v7
	s_cbranch_vccnz .LBB15_18
; %bb.17:
	v_mad_u64_u32 v[11:12], s[0:1], s8, v7, 0
	v_mad_u64_u32 v[14:15], s[0:1], s9, v7, v[12:13]
	v_mov_b32_e32 v12, v14
.LBB15_18:
	s_cbranch_execz .LBB15_20
	s_branch .LBB15_23
.LBB15_19:
                                        ; implicit-def: $vgpr11_vgpr12
.LBB15_20:
	s_andn2_b64 vcc, exec, s[20:21]
	s_cbranch_vccnz .LBB15_22
; %bb.21:
	v_mad_u64_u32 v[11:12], s[0:1], s8, v7, 0
	v_mov_b32_e32 v8, v12
	v_mad_u64_u32 v[7:8], s[0:1], s9, v7, v[8:9]
	v_mov_b32_e32 v12, v7
	v_mov_b32_e32 v7, v11
	;; [unrolled: 1-line block ×3, first 2 shown]
.LBB15_22:
	v_mov_b32_e32 v12, v8
	v_mov_b32_e32 v11, v7
.LBB15_23:
	s_load_dwordx2 s[2:3], s[4:5], 0x50
	v_and_b32_e32 v14, 3, v0
	v_mov_b32_e32 v7, 0
	v_mov_b32_e32 v8, 0
	v_cmp_gt_i32_e32 vcc, s10, v14
	s_and_saveexec_b64 s[16:17], vcc
	s_cbranch_execz .LBB15_27
; %bb.24:
	s_xor_b64 s[0:1], s[12:13], s[6:7]
	s_and_b64 s[0:1], s[0:1], exec
	s_cselect_b32 s0, 1, s14
	v_and_b32_e32 v17, 3, v0
	v_mad_u64_u32 v[7:8], s[6:7], s0, v17, 0
	s_cselect_b32 s1, 0, s15
	s_load_dwordx2 s[6:7], s[4:5], 0x28
	s_load_dwordx2 s[12:13], s[4:5], 0x38
	v_mov_b32_e32 v0, v8
	v_mad_u64_u32 v[15:16], s[14:15], s1, v17, v[0:1]
	s_xor_b64 s[4:5], s[20:21], s[18:19]
	s_and_b64 s[4:5], s[4:5], exec
	s_cselect_b32 s8, s8, 1
	v_mov_b32_e32 v8, v15
	v_mad_u64_u32 v[15:16], s[4:5], s8, v17, 0
	v_lshlrev_b64 v[7:8], 3, v[7:8]
	v_lshlrev_b64 v[9:10], 3, v[9:10]
	s_cselect_b32 s9, s9, 0
	v_add_co_u32_e32 v9, vcc, v7, v9
	v_mov_b32_e32 v0, v16
	v_addc_co_u32_e32 v10, vcc, v8, v10, vcc
	v_mad_u64_u32 v[7:8], s[4:5], s9, v17, v[0:1]
	s_waitcnt lgkmcnt(0)
	v_mov_b32_e32 v18, s7
	v_add_co_u32_e32 v9, vcc, s6, v9
	v_mov_b32_e32 v16, v7
	v_lshlrev_b64 v[7:8], 3, v[15:16]
	v_lshlrev_b64 v[11:12], 3, v[11:12]
	v_addc_co_u32_e32 v10, vcc, v18, v10, vcc
	v_add_co_u32_e32 v0, vcc, v7, v11
	v_addc_co_u32_e32 v7, vcc, v8, v12, vcc
	v_mov_b32_e32 v8, s13
	v_add_co_u32_e32 v11, vcc, s12, v0
	s_lshl_b64 s[4:5], s[0:1], 5
	v_addc_co_u32_e32 v12, vcc, v8, v7, vcc
	s_lshl_b64 s[6:7], s[8:9], 5
	v_mov_b32_e32 v7, 0
	v_mov_b32_e32 v8, 0
	s_mov_b64 s[8:9], 0
	v_mov_b32_e32 v0, s5
	v_mov_b32_e32 v15, s7
	;; [unrolled: 1-line block ×3, first 2 shown]
.LBB15_25:                              ; =>This Inner Loop Header: Depth=1
	global_load_dwordx2 v[17:18], v[9:10], off
	global_load_dwordx2 v[19:20], v[11:12], off
	v_add_co_u32_e32 v9, vcc, s4, v9
	v_add_u32_e32 v16, 4, v16
	v_addc_co_u32_e32 v10, vcc, v10, v0, vcc
	v_add_co_u32_e32 v11, vcc, s6, v11
	v_cmp_le_i32_e64 s[0:1], s10, v16
	s_or_b64 s[8:9], s[0:1], s[8:9]
	v_addc_co_u32_e32 v12, vcc, v12, v15, vcc
	s_waitcnt vmcnt(0)
	v_fma_f64 v[7:8], v[17:18], v[19:20], v[7:8]
	s_andn2_b64 exec, exec, s[8:9]
	s_cbranch_execnz .LBB15_25
; %bb.26:
	s_or_b64 exec, exec, s[8:9]
.LBB15_27:
	s_or_b64 exec, exec, s[16:17]
	v_lshlrev_b32_e32 v0, 5, v13
	v_lshl_or_b32 v9, v14, 3, v0
	v_cmp_gt_u32_e32 vcc, 2, v14
	ds_write_b64 v9, v[7:8]
	s_waitcnt lgkmcnt(0)
	s_barrier
	s_and_saveexec_b64 s[0:1], vcc
	s_cbranch_execz .LBB15_29
; %bb.28:
	ds_read2_b64 v[10:13], v9 offset1:2
	s_waitcnt lgkmcnt(0)
	v_add_f64 v[7:8], v[12:13], v[10:11]
	ds_write_b64 v9, v[7:8]
.LBB15_29:
	s_or_b64 exec, exec, s[0:1]
	v_cmp_eq_u32_e32 vcc, 0, v14
	s_waitcnt lgkmcnt(0)
	s_barrier
	s_and_saveexec_b64 s[0:1], vcc
	s_cbranch_execz .LBB15_31
; %bb.30:
	ds_read2_b64 v[10:13], v9 offset1:1
	s_waitcnt lgkmcnt(0)
	v_add_f64 v[7:8], v[12:13], v[10:11]
	ds_write_b64 v9, v[7:8]
.LBB15_31:
	s_or_b64 exec, exec, s[0:1]
	s_waitcnt lgkmcnt(0)
	s_barrier
	s_and_b64 exec, exec, vcc
	s_cbranch_execz .LBB15_33
; %bb.32:
	v_lshlrev_b64 v[5:6], 3, v[5:6]
	v_mov_b32_e32 v7, s3
	v_add_co_u32_e32 v5, vcc, s2, v5
	v_addc_co_u32_e32 v6, vcc, v7, v6, vcc
	global_load_dwordx2 v[7:8], v[5:6], off
	ds_read_b64 v[9:10], v0
	s_waitcnt lgkmcnt(0)
	v_mul_f64 v[0:1], v[1:2], v[9:10]
	s_waitcnt vmcnt(0)
	v_fma_f64 v[0:1], v[3:4], v[7:8], v[0:1]
	global_store_dwordx2 v[5:6], v[0:1], off
.LBB15_33:
	s_endpgm
	.section	.rodata,"a",@progbits
	.p2align	6, 0x0
	.amdhsa_kernel _ZN9rocsparseL16sddmm_ell_kernelILi512ELi4EdiidddEEv20rocsparse_operation_S1_16rocsparse_order_S2_T3_S3_S3_T2_NS_24const_host_device_scalarIT1_EEPKT4_lPKT5_lS7_PT6_PKS3_21rocsparse_index_base_b
		.amdhsa_group_segment_fixed_size 4096
		.amdhsa_private_segment_fixed_size 0
		.amdhsa_kernarg_size 104
		.amdhsa_user_sgpr_count 6
		.amdhsa_user_sgpr_private_segment_buffer 1
		.amdhsa_user_sgpr_dispatch_ptr 0
		.amdhsa_user_sgpr_queue_ptr 0
		.amdhsa_user_sgpr_kernarg_segment_ptr 1
		.amdhsa_user_sgpr_dispatch_id 0
		.amdhsa_user_sgpr_flat_scratch_init 0
		.amdhsa_user_sgpr_private_segment_size 0
		.amdhsa_uses_dynamic_stack 0
		.amdhsa_system_sgpr_private_segment_wavefront_offset 0
		.amdhsa_system_sgpr_workgroup_id_x 1
		.amdhsa_system_sgpr_workgroup_id_y 0
		.amdhsa_system_sgpr_workgroup_id_z 0
		.amdhsa_system_sgpr_workgroup_info 0
		.amdhsa_system_vgpr_workitem_id 0
		.amdhsa_next_free_vgpr 21
		.amdhsa_next_free_sgpr 22
		.amdhsa_reserve_vcc 1
		.amdhsa_reserve_flat_scratch 0
		.amdhsa_float_round_mode_32 0
		.amdhsa_float_round_mode_16_64 0
		.amdhsa_float_denorm_mode_32 3
		.amdhsa_float_denorm_mode_16_64 3
		.amdhsa_dx10_clamp 1
		.amdhsa_ieee_mode 1
		.amdhsa_fp16_overflow 0
		.amdhsa_exception_fp_ieee_invalid_op 0
		.amdhsa_exception_fp_denorm_src 0
		.amdhsa_exception_fp_ieee_div_zero 0
		.amdhsa_exception_fp_ieee_overflow 0
		.amdhsa_exception_fp_ieee_underflow 0
		.amdhsa_exception_fp_ieee_inexact 0
		.amdhsa_exception_int_div_zero 0
	.end_amdhsa_kernel
	.section	.text._ZN9rocsparseL16sddmm_ell_kernelILi512ELi4EdiidddEEv20rocsparse_operation_S1_16rocsparse_order_S2_T3_S3_S3_T2_NS_24const_host_device_scalarIT1_EEPKT4_lPKT5_lS7_PT6_PKS3_21rocsparse_index_base_b,"axG",@progbits,_ZN9rocsparseL16sddmm_ell_kernelILi512ELi4EdiidddEEv20rocsparse_operation_S1_16rocsparse_order_S2_T3_S3_S3_T2_NS_24const_host_device_scalarIT1_EEPKT4_lPKT5_lS7_PT6_PKS3_21rocsparse_index_base_b,comdat
.Lfunc_end15:
	.size	_ZN9rocsparseL16sddmm_ell_kernelILi512ELi4EdiidddEEv20rocsparse_operation_S1_16rocsparse_order_S2_T3_S3_S3_T2_NS_24const_host_device_scalarIT1_EEPKT4_lPKT5_lS7_PT6_PKS3_21rocsparse_index_base_b, .Lfunc_end15-_ZN9rocsparseL16sddmm_ell_kernelILi512ELi4EdiidddEEv20rocsparse_operation_S1_16rocsparse_order_S2_T3_S3_S3_T2_NS_24const_host_device_scalarIT1_EEPKT4_lPKT5_lS7_PT6_PKS3_21rocsparse_index_base_b
                                        ; -- End function
	.set _ZN9rocsparseL16sddmm_ell_kernelILi512ELi4EdiidddEEv20rocsparse_operation_S1_16rocsparse_order_S2_T3_S3_S3_T2_NS_24const_host_device_scalarIT1_EEPKT4_lPKT5_lS7_PT6_PKS3_21rocsparse_index_base_b.num_vgpr, 21
	.set _ZN9rocsparseL16sddmm_ell_kernelILi512ELi4EdiidddEEv20rocsparse_operation_S1_16rocsparse_order_S2_T3_S3_S3_T2_NS_24const_host_device_scalarIT1_EEPKT4_lPKT5_lS7_PT6_PKS3_21rocsparse_index_base_b.num_agpr, 0
	.set _ZN9rocsparseL16sddmm_ell_kernelILi512ELi4EdiidddEEv20rocsparse_operation_S1_16rocsparse_order_S2_T3_S3_S3_T2_NS_24const_host_device_scalarIT1_EEPKT4_lPKT5_lS7_PT6_PKS3_21rocsparse_index_base_b.numbered_sgpr, 22
	.set _ZN9rocsparseL16sddmm_ell_kernelILi512ELi4EdiidddEEv20rocsparse_operation_S1_16rocsparse_order_S2_T3_S3_S3_T2_NS_24const_host_device_scalarIT1_EEPKT4_lPKT5_lS7_PT6_PKS3_21rocsparse_index_base_b.num_named_barrier, 0
	.set _ZN9rocsparseL16sddmm_ell_kernelILi512ELi4EdiidddEEv20rocsparse_operation_S1_16rocsparse_order_S2_T3_S3_S3_T2_NS_24const_host_device_scalarIT1_EEPKT4_lPKT5_lS7_PT6_PKS3_21rocsparse_index_base_b.private_seg_size, 0
	.set _ZN9rocsparseL16sddmm_ell_kernelILi512ELi4EdiidddEEv20rocsparse_operation_S1_16rocsparse_order_S2_T3_S3_S3_T2_NS_24const_host_device_scalarIT1_EEPKT4_lPKT5_lS7_PT6_PKS3_21rocsparse_index_base_b.uses_vcc, 1
	.set _ZN9rocsparseL16sddmm_ell_kernelILi512ELi4EdiidddEEv20rocsparse_operation_S1_16rocsparse_order_S2_T3_S3_S3_T2_NS_24const_host_device_scalarIT1_EEPKT4_lPKT5_lS7_PT6_PKS3_21rocsparse_index_base_b.uses_flat_scratch, 0
	.set _ZN9rocsparseL16sddmm_ell_kernelILi512ELi4EdiidddEEv20rocsparse_operation_S1_16rocsparse_order_S2_T3_S3_S3_T2_NS_24const_host_device_scalarIT1_EEPKT4_lPKT5_lS7_PT6_PKS3_21rocsparse_index_base_b.has_dyn_sized_stack, 0
	.set _ZN9rocsparseL16sddmm_ell_kernelILi512ELi4EdiidddEEv20rocsparse_operation_S1_16rocsparse_order_S2_T3_S3_S3_T2_NS_24const_host_device_scalarIT1_EEPKT4_lPKT5_lS7_PT6_PKS3_21rocsparse_index_base_b.has_recursion, 0
	.set _ZN9rocsparseL16sddmm_ell_kernelILi512ELi4EdiidddEEv20rocsparse_operation_S1_16rocsparse_order_S2_T3_S3_S3_T2_NS_24const_host_device_scalarIT1_EEPKT4_lPKT5_lS7_PT6_PKS3_21rocsparse_index_base_b.has_indirect_call, 0
	.section	.AMDGPU.csdata,"",@progbits
; Kernel info:
; codeLenInByte = 1164
; TotalNumSgprs: 26
; NumVgprs: 21
; ScratchSize: 0
; MemoryBound: 0
; FloatMode: 240
; IeeeMode: 1
; LDSByteSize: 4096 bytes/workgroup (compile time only)
; SGPRBlocks: 3
; VGPRBlocks: 5
; NumSGPRsForWavesPerEU: 26
; NumVGPRsForWavesPerEU: 21
; Occupancy: 10
; WaveLimiterHint : 0
; COMPUTE_PGM_RSRC2:SCRATCH_EN: 0
; COMPUTE_PGM_RSRC2:USER_SGPR: 6
; COMPUTE_PGM_RSRC2:TRAP_HANDLER: 0
; COMPUTE_PGM_RSRC2:TGID_X_EN: 1
; COMPUTE_PGM_RSRC2:TGID_Y_EN: 0
; COMPUTE_PGM_RSRC2:TGID_Z_EN: 0
; COMPUTE_PGM_RSRC2:TIDIG_COMP_CNT: 0
	.section	.text._ZN9rocsparseL16sddmm_ell_kernelILi512ELi2EdiidddEEv20rocsparse_operation_S1_16rocsparse_order_S2_T3_S3_S3_T2_NS_24const_host_device_scalarIT1_EEPKT4_lPKT5_lS7_PT6_PKS3_21rocsparse_index_base_b,"axG",@progbits,_ZN9rocsparseL16sddmm_ell_kernelILi512ELi2EdiidddEEv20rocsparse_operation_S1_16rocsparse_order_S2_T3_S3_S3_T2_NS_24const_host_device_scalarIT1_EEPKT4_lPKT5_lS7_PT6_PKS3_21rocsparse_index_base_b,comdat
	.globl	_ZN9rocsparseL16sddmm_ell_kernelILi512ELi2EdiidddEEv20rocsparse_operation_S1_16rocsparse_order_S2_T3_S3_S3_T2_NS_24const_host_device_scalarIT1_EEPKT4_lPKT5_lS7_PT6_PKS3_21rocsparse_index_base_b ; -- Begin function _ZN9rocsparseL16sddmm_ell_kernelILi512ELi2EdiidddEEv20rocsparse_operation_S1_16rocsparse_order_S2_T3_S3_S3_T2_NS_24const_host_device_scalarIT1_EEPKT4_lPKT5_lS7_PT6_PKS3_21rocsparse_index_base_b
	.p2align	8
	.type	_ZN9rocsparseL16sddmm_ell_kernelILi512ELi2EdiidddEEv20rocsparse_operation_S1_16rocsparse_order_S2_T3_S3_S3_T2_NS_24const_host_device_scalarIT1_EEPKT4_lPKT5_lS7_PT6_PKS3_21rocsparse_index_base_b,@function
_ZN9rocsparseL16sddmm_ell_kernelILi512ELi2EdiidddEEv20rocsparse_operation_S1_16rocsparse_order_S2_T3_S3_S3_T2_NS_24const_host_device_scalarIT1_EEPKT4_lPKT5_lS7_PT6_PKS3_21rocsparse_index_base_b: ; @_ZN9rocsparseL16sddmm_ell_kernelILi512ELi2EdiidddEEv20rocsparse_operation_S1_16rocsparse_order_S2_T3_S3_S3_T2_NS_24const_host_device_scalarIT1_EEPKT4_lPKT5_lS7_PT6_PKS3_21rocsparse_index_base_b
; %bb.0:
	s_load_dwordx2 s[2:3], s[4:5], 0x60
	s_load_dwordx2 s[12:13], s[4:5], 0x20
	s_load_dwordx4 s[8:11], s[4:5], 0x40
	s_waitcnt lgkmcnt(0)
	s_bitcmp1_b32 s3, 0
	s_cselect_b64 s[14:15], -1, 0
	v_mov_b32_e32 v1, s12
	s_xor_b64 s[0:1], s[14:15], -1
	s_and_b64 vcc, exec, s[14:15]
	v_mov_b32_e32 v2, s13
	s_cbranch_vccnz .LBB16_2
; %bb.1:
	v_mov_b32_e32 v1, s12
	v_mov_b32_e32 v2, s13
	flat_load_dwordx2 v[1:2], v[1:2]
.LBB16_2:
	v_mov_b32_e32 v3, s10
	s_andn2_b64 vcc, exec, s[0:1]
	v_mov_b32_e32 v4, s11
	s_cbranch_vccnz .LBB16_4
; %bb.3:
	v_mov_b32_e32 v3, s10
	v_mov_b32_e32 v4, s11
	flat_load_dwordx2 v[3:4], v[3:4]
.LBB16_4:
	s_waitcnt vmcnt(0) lgkmcnt(0)
	v_cmp_neq_f64_e32 vcc, 0, v[1:2]
	v_cmp_neq_f64_e64 s[0:1], 1.0, v[3:4]
	s_or_b64 s[0:1], vcc, s[0:1]
	s_and_saveexec_b64 s[10:11], s[0:1]
	s_cbranch_execz .LBB16_31
; %bb.5:
	s_load_dwordx2 s[10:11], s[4:5], 0x18
	v_lshrrev_b32_e32 v13, 1, v0
	v_lshl_or_b32 v5, s6, 8, v13
	s_waitcnt lgkmcnt(0)
	v_cmp_gt_i32_e32 vcc, s11, v5
	s_and_b64 exec, exec, vcc
	s_cbranch_execz .LBB16_31
; %bb.6:
	s_load_dwordx2 s[0:1], s[4:5], 0x58
	v_ashrrev_i32_e32 v6, 31, v5
	v_lshlrev_b64 v[7:8], 2, v[5:6]
	s_waitcnt lgkmcnt(0)
	v_mov_b32_e32 v9, s1
	v_add_co_u32_e32 v7, vcc, s0, v7
	v_addc_co_u32_e32 v8, vcc, v9, v8, vcc
	global_load_dword v7, v[7:8], off
	s_waitcnt vmcnt(0)
	v_subrev_u32_e32 v7, s2, v7
	v_cmp_lt_i32_e32 vcc, -1, v7
	s_and_b64 exec, exec, vcc
	s_cbranch_execz .LBB16_31
; %bb.7:
	s_load_dwordx4 s[0:3], s[4:5], 0x0
	s_load_dword s11, s[4:5], 0x10
	v_sub_u32_e32 v10, 0, v5
	v_max_i32_e32 v10, v5, v10
	s_load_dwordx2 s[14:15], s[4:5], 0x30
	s_waitcnt lgkmcnt(0)
	s_cmp_eq_u32 s2, 1
	s_cselect_b64 s[6:7], -1, 0
	s_cmpk_eq_i32 s0, 0x6f
	s_cselect_b64 s[12:13], -1, 0
	s_cmpk_lg_i32 s0, 0x6f
	s_cselect_b64 s[16:17], -1, 0
	s_abs_i32 s0, s11
	v_cvt_f32_u32_e32 v8, s0
	s_sub_i32 s11, 0, s0
	s_cmp_lg_u32 s2, 1
	v_rcp_iflag_f32_e32 v8, v8
	v_mul_f32_e32 v8, 0x4f7ffffe, v8
	v_cvt_u32_f32_e32 v8, v8
	v_mul_lo_u32 v9, s11, v8
	v_mul_hi_u32 v9, v8, v9
	v_add_u32_e32 v8, v8, v9
	v_mul_hi_u32 v8, v10, v8
	v_mul_lo_u32 v8, v8, s0
	v_sub_u32_e32 v8, v10, v8
	v_subrev_u32_e32 v9, s0, v8
	v_cmp_le_u32_e32 vcc, s0, v8
	v_cndmask_b32_e32 v8, v8, v9, vcc
	v_subrev_u32_e32 v9, s0, v8
	v_cmp_le_u32_e32 vcc, s0, v8
	v_cndmask_b32_e32 v8, v8, v9, vcc
	v_xor_b32_e32 v8, v8, v6
	v_sub_u32_e32 v11, v8, v6
	v_ashrrev_i32_e32 v12, 31, v11
	s_cbranch_scc0 .LBB16_11
; %bb.8:
	v_mov_b32_e32 v9, v11
	s_andn2_b64 vcc, exec, s[12:13]
	v_mov_b32_e32 v10, v12
	s_cbranch_vccnz .LBB16_10
; %bb.9:
	v_mul_lo_u32 v8, s15, v11
	v_mul_lo_u32 v14, s14, v12
	v_mad_u64_u32 v[9:10], s[18:19], s14, v11, 0
	v_add3_u32 v10, v10, v14, v8
.LBB16_10:
	s_cbranch_execz .LBB16_12
	s_branch .LBB16_15
.LBB16_11:
                                        ; implicit-def: $vgpr9_vgpr10
.LBB16_12:
	s_andn2_b64 vcc, exec, s[16:17]
	s_cbranch_vccnz .LBB16_14
; %bb.13:
	v_mul_lo_u32 v8, s15, v11
	v_mul_lo_u32 v9, s14, v12
	v_mad_u64_u32 v[11:12], s[16:17], s14, v11, 0
	v_add3_u32 v12, v12, v9, v8
.LBB16_14:
	v_mov_b32_e32 v9, v11
	v_mov_b32_e32 v10, v12
.LBB16_15:
	s_cmp_eq_u32 s3, 1
	s_cselect_b64 s[18:19], -1, 0
	s_cmpk_eq_i32 s1, 0x6f
	s_cselect_b64 s[20:21], -1, 0
	s_cmpk_lg_i32 s1, 0x6f
	s_cselect_b64 s[0:1], -1, 0
	s_cmp_lg_u32 s3, 1
	v_mov_b32_e32 v8, 0
	s_cbranch_scc0 .LBB16_19
; %bb.16:
	v_mov_b32_e32 v12, v8
	s_andn2_b64 vcc, exec, s[0:1]
	v_mov_b32_e32 v11, v7
	s_cbranch_vccnz .LBB16_18
; %bb.17:
	v_mad_u64_u32 v[11:12], s[0:1], s8, v7, 0
	v_mad_u64_u32 v[14:15], s[0:1], s9, v7, v[12:13]
	v_mov_b32_e32 v12, v14
.LBB16_18:
	s_cbranch_execz .LBB16_20
	s_branch .LBB16_23
.LBB16_19:
                                        ; implicit-def: $vgpr11_vgpr12
.LBB16_20:
	s_andn2_b64 vcc, exec, s[20:21]
	s_cbranch_vccnz .LBB16_22
; %bb.21:
	v_mad_u64_u32 v[11:12], s[0:1], s8, v7, 0
	v_mov_b32_e32 v8, v12
	v_mad_u64_u32 v[7:8], s[0:1], s9, v7, v[8:9]
	v_mov_b32_e32 v12, v7
	v_mov_b32_e32 v7, v11
	;; [unrolled: 1-line block ×3, first 2 shown]
.LBB16_22:
	v_mov_b32_e32 v12, v8
	v_mov_b32_e32 v11, v7
.LBB16_23:
	s_load_dwordx2 s[2:3], s[4:5], 0x50
	v_and_b32_e32 v14, 1, v0
	v_mov_b32_e32 v7, 0
	v_mov_b32_e32 v8, 0
	v_cmp_gt_i32_e32 vcc, s10, v14
	s_and_saveexec_b64 s[16:17], vcc
	s_cbranch_execz .LBB16_27
; %bb.24:
	s_load_dwordx2 s[0:1], s[4:5], 0x28
	s_load_dwordx2 s[22:23], s[4:5], 0x38
	s_xor_b64 s[4:5], s[12:13], s[6:7]
	s_and_b64 s[4:5], s[4:5], exec
	s_cselect_b32 s5, 0, s15
	s_cselect_b32 s4, 1, s14
	v_and_b32_e32 v0, 1, v0
	v_mul_lo_u32 v8, s5, v0
	v_mul_lo_u32 v7, s4, v0
	s_xor_b64 s[6:7], s[20:21], s[18:19]
	v_lshlrev_b64 v[9:10], 3, v[9:10]
	s_and_b64 s[6:7], s[6:7], exec
	v_lshlrev_b64 v[7:8], 3, v[7:8]
	s_cselect_b32 s7, s9, 0
	s_cselect_b32 s6, s8, 1
	v_add_co_u32_e32 v9, vcc, v7, v9
	v_addc_co_u32_e32 v10, vcc, v8, v10, vcc
	v_mul_lo_u32 v8, s7, v0
	v_mul_lo_u32 v7, s6, v0
	s_waitcnt lgkmcnt(0)
	v_mov_b32_e32 v15, s1
	v_add_co_u32_e32 v9, vcc, s0, v9
	v_lshlrev_b64 v[7:8], 3, v[7:8]
	v_lshlrev_b64 v[11:12], 3, v[11:12]
	v_addc_co_u32_e32 v10, vcc, v15, v10, vcc
	v_add_co_u32_e32 v0, vcc, v7, v11
	v_addc_co_u32_e32 v7, vcc, v8, v12, vcc
	v_mov_b32_e32 v8, s23
	v_add_co_u32_e32 v11, vcc, s22, v0
	s_lshl_b64 s[4:5], s[4:5], 4
	v_addc_co_u32_e32 v12, vcc, v8, v7, vcc
	s_lshl_b64 s[6:7], s[6:7], 4
	v_mov_b32_e32 v7, 0
	v_mov_b32_e32 v8, 0
	s_mov_b64 s[8:9], 0
	v_mov_b32_e32 v0, s5
	v_mov_b32_e32 v15, s7
	;; [unrolled: 1-line block ×3, first 2 shown]
.LBB16_25:                              ; =>This Inner Loop Header: Depth=1
	global_load_dwordx2 v[17:18], v[9:10], off
	global_load_dwordx2 v[19:20], v[11:12], off
	v_add_co_u32_e32 v9, vcc, s4, v9
	v_add_u32_e32 v16, 2, v16
	v_addc_co_u32_e32 v10, vcc, v10, v0, vcc
	v_add_co_u32_e32 v11, vcc, s6, v11
	v_cmp_le_i32_e64 s[0:1], s10, v16
	s_or_b64 s[8:9], s[0:1], s[8:9]
	v_addc_co_u32_e32 v12, vcc, v12, v15, vcc
	s_waitcnt vmcnt(0)
	v_fma_f64 v[7:8], v[17:18], v[19:20], v[7:8]
	s_andn2_b64 exec, exec, s[8:9]
	s_cbranch_execnz .LBB16_25
; %bb.26:
	s_or_b64 exec, exec, s[8:9]
.LBB16_27:
	s_or_b64 exec, exec, s[16:17]
	v_lshlrev_b32_e32 v0, 4, v13
	v_lshl_or_b32 v9, v14, 3, v0
	v_cmp_eq_u32_e32 vcc, 0, v14
	ds_write_b64 v9, v[7:8]
	s_waitcnt lgkmcnt(0)
	s_barrier
	s_and_saveexec_b64 s[0:1], vcc
	s_cbranch_execz .LBB16_29
; %bb.28:
	ds_read_b64 v[7:8], v0 offset:8
	ds_read_b64 v[10:11], v9
	s_waitcnt lgkmcnt(0)
	v_add_f64 v[7:8], v[7:8], v[10:11]
	ds_write_b64 v9, v[7:8]
.LBB16_29:
	s_or_b64 exec, exec, s[0:1]
	s_waitcnt lgkmcnt(0)
	s_barrier
	s_and_b64 exec, exec, vcc
	s_cbranch_execz .LBB16_31
; %bb.30:
	v_lshlrev_b64 v[5:6], 3, v[5:6]
	v_mov_b32_e32 v7, s3
	v_add_co_u32_e32 v5, vcc, s2, v5
	v_addc_co_u32_e32 v6, vcc, v7, v6, vcc
	global_load_dwordx2 v[7:8], v[5:6], off
	ds_read_b64 v[9:10], v0
	s_waitcnt lgkmcnt(0)
	v_mul_f64 v[0:1], v[1:2], v[9:10]
	s_waitcnt vmcnt(0)
	v_fma_f64 v[0:1], v[3:4], v[7:8], v[0:1]
	global_store_dwordx2 v[5:6], v[0:1], off
.LBB16_31:
	s_endpgm
	.section	.rodata,"a",@progbits
	.p2align	6, 0x0
	.amdhsa_kernel _ZN9rocsparseL16sddmm_ell_kernelILi512ELi2EdiidddEEv20rocsparse_operation_S1_16rocsparse_order_S2_T3_S3_S3_T2_NS_24const_host_device_scalarIT1_EEPKT4_lPKT5_lS7_PT6_PKS3_21rocsparse_index_base_b
		.amdhsa_group_segment_fixed_size 4096
		.amdhsa_private_segment_fixed_size 0
		.amdhsa_kernarg_size 104
		.amdhsa_user_sgpr_count 6
		.amdhsa_user_sgpr_private_segment_buffer 1
		.amdhsa_user_sgpr_dispatch_ptr 0
		.amdhsa_user_sgpr_queue_ptr 0
		.amdhsa_user_sgpr_kernarg_segment_ptr 1
		.amdhsa_user_sgpr_dispatch_id 0
		.amdhsa_user_sgpr_flat_scratch_init 0
		.amdhsa_user_sgpr_private_segment_size 0
		.amdhsa_uses_dynamic_stack 0
		.amdhsa_system_sgpr_private_segment_wavefront_offset 0
		.amdhsa_system_sgpr_workgroup_id_x 1
		.amdhsa_system_sgpr_workgroup_id_y 0
		.amdhsa_system_sgpr_workgroup_id_z 0
		.amdhsa_system_sgpr_workgroup_info 0
		.amdhsa_system_vgpr_workitem_id 0
		.amdhsa_next_free_vgpr 21
		.amdhsa_next_free_sgpr 24
		.amdhsa_reserve_vcc 1
		.amdhsa_reserve_flat_scratch 0
		.amdhsa_float_round_mode_32 0
		.amdhsa_float_round_mode_16_64 0
		.amdhsa_float_denorm_mode_32 3
		.amdhsa_float_denorm_mode_16_64 3
		.amdhsa_dx10_clamp 1
		.amdhsa_ieee_mode 1
		.amdhsa_fp16_overflow 0
		.amdhsa_exception_fp_ieee_invalid_op 0
		.amdhsa_exception_fp_denorm_src 0
		.amdhsa_exception_fp_ieee_div_zero 0
		.amdhsa_exception_fp_ieee_overflow 0
		.amdhsa_exception_fp_ieee_underflow 0
		.amdhsa_exception_fp_ieee_inexact 0
		.amdhsa_exception_int_div_zero 0
	.end_amdhsa_kernel
	.section	.text._ZN9rocsparseL16sddmm_ell_kernelILi512ELi2EdiidddEEv20rocsparse_operation_S1_16rocsparse_order_S2_T3_S3_S3_T2_NS_24const_host_device_scalarIT1_EEPKT4_lPKT5_lS7_PT6_PKS3_21rocsparse_index_base_b,"axG",@progbits,_ZN9rocsparseL16sddmm_ell_kernelILi512ELi2EdiidddEEv20rocsparse_operation_S1_16rocsparse_order_S2_T3_S3_S3_T2_NS_24const_host_device_scalarIT1_EEPKT4_lPKT5_lS7_PT6_PKS3_21rocsparse_index_base_b,comdat
.Lfunc_end16:
	.size	_ZN9rocsparseL16sddmm_ell_kernelILi512ELi2EdiidddEEv20rocsparse_operation_S1_16rocsparse_order_S2_T3_S3_S3_T2_NS_24const_host_device_scalarIT1_EEPKT4_lPKT5_lS7_PT6_PKS3_21rocsparse_index_base_b, .Lfunc_end16-_ZN9rocsparseL16sddmm_ell_kernelILi512ELi2EdiidddEEv20rocsparse_operation_S1_16rocsparse_order_S2_T3_S3_S3_T2_NS_24const_host_device_scalarIT1_EEPKT4_lPKT5_lS7_PT6_PKS3_21rocsparse_index_base_b
                                        ; -- End function
	.set _ZN9rocsparseL16sddmm_ell_kernelILi512ELi2EdiidddEEv20rocsparse_operation_S1_16rocsparse_order_S2_T3_S3_S3_T2_NS_24const_host_device_scalarIT1_EEPKT4_lPKT5_lS7_PT6_PKS3_21rocsparse_index_base_b.num_vgpr, 21
	.set _ZN9rocsparseL16sddmm_ell_kernelILi512ELi2EdiidddEEv20rocsparse_operation_S1_16rocsparse_order_S2_T3_S3_S3_T2_NS_24const_host_device_scalarIT1_EEPKT4_lPKT5_lS7_PT6_PKS3_21rocsparse_index_base_b.num_agpr, 0
	.set _ZN9rocsparseL16sddmm_ell_kernelILi512ELi2EdiidddEEv20rocsparse_operation_S1_16rocsparse_order_S2_T3_S3_S3_T2_NS_24const_host_device_scalarIT1_EEPKT4_lPKT5_lS7_PT6_PKS3_21rocsparse_index_base_b.numbered_sgpr, 24
	.set _ZN9rocsparseL16sddmm_ell_kernelILi512ELi2EdiidddEEv20rocsparse_operation_S1_16rocsparse_order_S2_T3_S3_S3_T2_NS_24const_host_device_scalarIT1_EEPKT4_lPKT5_lS7_PT6_PKS3_21rocsparse_index_base_b.num_named_barrier, 0
	.set _ZN9rocsparseL16sddmm_ell_kernelILi512ELi2EdiidddEEv20rocsparse_operation_S1_16rocsparse_order_S2_T3_S3_S3_T2_NS_24const_host_device_scalarIT1_EEPKT4_lPKT5_lS7_PT6_PKS3_21rocsparse_index_base_b.private_seg_size, 0
	.set _ZN9rocsparseL16sddmm_ell_kernelILi512ELi2EdiidddEEv20rocsparse_operation_S1_16rocsparse_order_S2_T3_S3_S3_T2_NS_24const_host_device_scalarIT1_EEPKT4_lPKT5_lS7_PT6_PKS3_21rocsparse_index_base_b.uses_vcc, 1
	.set _ZN9rocsparseL16sddmm_ell_kernelILi512ELi2EdiidddEEv20rocsparse_operation_S1_16rocsparse_order_S2_T3_S3_S3_T2_NS_24const_host_device_scalarIT1_EEPKT4_lPKT5_lS7_PT6_PKS3_21rocsparse_index_base_b.uses_flat_scratch, 0
	.set _ZN9rocsparseL16sddmm_ell_kernelILi512ELi2EdiidddEEv20rocsparse_operation_S1_16rocsparse_order_S2_T3_S3_S3_T2_NS_24const_host_device_scalarIT1_EEPKT4_lPKT5_lS7_PT6_PKS3_21rocsparse_index_base_b.has_dyn_sized_stack, 0
	.set _ZN9rocsparseL16sddmm_ell_kernelILi512ELi2EdiidddEEv20rocsparse_operation_S1_16rocsparse_order_S2_T3_S3_S3_T2_NS_24const_host_device_scalarIT1_EEPKT4_lPKT5_lS7_PT6_PKS3_21rocsparse_index_base_b.has_recursion, 0
	.set _ZN9rocsparseL16sddmm_ell_kernelILi512ELi2EdiidddEEv20rocsparse_operation_S1_16rocsparse_order_S2_T3_S3_S3_T2_NS_24const_host_device_scalarIT1_EEPKT4_lPKT5_lS7_PT6_PKS3_21rocsparse_index_base_b.has_indirect_call, 0
	.section	.AMDGPU.csdata,"",@progbits
; Kernel info:
; codeLenInByte = 1104
; TotalNumSgprs: 28
; NumVgprs: 21
; ScratchSize: 0
; MemoryBound: 0
; FloatMode: 240
; IeeeMode: 1
; LDSByteSize: 4096 bytes/workgroup (compile time only)
; SGPRBlocks: 3
; VGPRBlocks: 5
; NumSGPRsForWavesPerEU: 28
; NumVGPRsForWavesPerEU: 21
; Occupancy: 10
; WaveLimiterHint : 0
; COMPUTE_PGM_RSRC2:SCRATCH_EN: 0
; COMPUTE_PGM_RSRC2:USER_SGPR: 6
; COMPUTE_PGM_RSRC2:TRAP_HANDLER: 0
; COMPUTE_PGM_RSRC2:TGID_X_EN: 1
; COMPUTE_PGM_RSRC2:TGID_Y_EN: 0
; COMPUTE_PGM_RSRC2:TGID_Z_EN: 0
; COMPUTE_PGM_RSRC2:TIDIG_COMP_CNT: 0
	.section	.text._ZN9rocsparseL16sddmm_ell_kernelILi512ELi1EdiidddEEv20rocsparse_operation_S1_16rocsparse_order_S2_T3_S3_S3_T2_NS_24const_host_device_scalarIT1_EEPKT4_lPKT5_lS7_PT6_PKS3_21rocsparse_index_base_b,"axG",@progbits,_ZN9rocsparseL16sddmm_ell_kernelILi512ELi1EdiidddEEv20rocsparse_operation_S1_16rocsparse_order_S2_T3_S3_S3_T2_NS_24const_host_device_scalarIT1_EEPKT4_lPKT5_lS7_PT6_PKS3_21rocsparse_index_base_b,comdat
	.globl	_ZN9rocsparseL16sddmm_ell_kernelILi512ELi1EdiidddEEv20rocsparse_operation_S1_16rocsparse_order_S2_T3_S3_S3_T2_NS_24const_host_device_scalarIT1_EEPKT4_lPKT5_lS7_PT6_PKS3_21rocsparse_index_base_b ; -- Begin function _ZN9rocsparseL16sddmm_ell_kernelILi512ELi1EdiidddEEv20rocsparse_operation_S1_16rocsparse_order_S2_T3_S3_S3_T2_NS_24const_host_device_scalarIT1_EEPKT4_lPKT5_lS7_PT6_PKS3_21rocsparse_index_base_b
	.p2align	8
	.type	_ZN9rocsparseL16sddmm_ell_kernelILi512ELi1EdiidddEEv20rocsparse_operation_S1_16rocsparse_order_S2_T3_S3_S3_T2_NS_24const_host_device_scalarIT1_EEPKT4_lPKT5_lS7_PT6_PKS3_21rocsparse_index_base_b,@function
_ZN9rocsparseL16sddmm_ell_kernelILi512ELi1EdiidddEEv20rocsparse_operation_S1_16rocsparse_order_S2_T3_S3_S3_T2_NS_24const_host_device_scalarIT1_EEPKT4_lPKT5_lS7_PT6_PKS3_21rocsparse_index_base_b: ; @_ZN9rocsparseL16sddmm_ell_kernelILi512ELi1EdiidddEEv20rocsparse_operation_S1_16rocsparse_order_S2_T3_S3_S3_T2_NS_24const_host_device_scalarIT1_EEPKT4_lPKT5_lS7_PT6_PKS3_21rocsparse_index_base_b
; %bb.0:
	s_load_dwordx2 s[2:3], s[4:5], 0x60
	s_load_dwordx2 s[12:13], s[4:5], 0x20
	s_load_dwordx4 s[8:11], s[4:5], 0x40
	s_waitcnt lgkmcnt(0)
	s_bitcmp1_b32 s3, 0
	s_cselect_b64 s[14:15], -1, 0
	v_mov_b32_e32 v1, s12
	s_xor_b64 s[0:1], s[14:15], -1
	s_and_b64 vcc, exec, s[14:15]
	v_mov_b32_e32 v2, s13
	s_cbranch_vccnz .LBB17_2
; %bb.1:
	v_mov_b32_e32 v1, s12
	v_mov_b32_e32 v2, s13
	flat_load_dwordx2 v[1:2], v[1:2]
.LBB17_2:
	v_mov_b32_e32 v3, s10
	s_andn2_b64 vcc, exec, s[0:1]
	v_mov_b32_e32 v4, s11
	s_cbranch_vccnz .LBB17_4
; %bb.3:
	v_mov_b32_e32 v3, s10
	v_mov_b32_e32 v4, s11
	flat_load_dwordx2 v[3:4], v[3:4]
.LBB17_4:
	s_waitcnt vmcnt(0) lgkmcnt(0)
	v_cmp_neq_f64_e32 vcc, 0, v[1:2]
	v_cmp_neq_f64_e64 s[0:1], 1.0, v[3:4]
	s_or_b64 s[0:1], vcc, s[0:1]
	s_and_saveexec_b64 s[10:11], s[0:1]
	s_cbranch_execz .LBB17_28
; %bb.5:
	s_load_dwordx2 s[10:11], s[4:5], 0x18
	v_lshl_or_b32 v5, s6, 9, v0
	s_waitcnt lgkmcnt(0)
	v_cmp_gt_i32_e32 vcc, s11, v5
	s_and_b64 exec, exec, vcc
	s_cbranch_execz .LBB17_28
; %bb.6:
	s_load_dwordx2 s[0:1], s[4:5], 0x58
	v_ashrrev_i32_e32 v6, 31, v5
	v_lshlrev_b64 v[7:8], 2, v[5:6]
	s_waitcnt lgkmcnt(0)
	v_mov_b32_e32 v9, s1
	v_add_co_u32_e32 v7, vcc, s0, v7
	v_addc_co_u32_e32 v8, vcc, v9, v8, vcc
	global_load_dword v7, v[7:8], off
	s_waitcnt vmcnt(0)
	v_subrev_u32_e32 v7, s2, v7
	v_cmp_lt_i32_e32 vcc, -1, v7
	s_and_b64 exec, exec, vcc
	s_cbranch_execz .LBB17_28
; %bb.7:
	s_load_dwordx4 s[0:3], s[4:5], 0x0
	s_load_dword s11, s[4:5], 0x10
	v_sub_u32_e32 v10, 0, v5
	v_max_i32_e32 v10, v5, v10
	s_load_dwordx2 s[14:15], s[4:5], 0x30
	s_waitcnt lgkmcnt(0)
	s_cmp_eq_u32 s2, 1
	s_cselect_b64 s[6:7], -1, 0
	s_cmpk_eq_i32 s0, 0x6f
	s_cselect_b64 s[12:13], -1, 0
	s_cmpk_lg_i32 s0, 0x6f
	s_cselect_b64 s[16:17], -1, 0
	s_abs_i32 s0, s11
	v_cvt_f32_u32_e32 v8, s0
	s_sub_i32 s11, 0, s0
	s_cmp_lg_u32 s2, 1
	v_rcp_iflag_f32_e32 v8, v8
	v_mul_f32_e32 v8, 0x4f7ffffe, v8
	v_cvt_u32_f32_e32 v8, v8
	v_mul_lo_u32 v9, s11, v8
	v_mul_hi_u32 v9, v8, v9
	v_add_u32_e32 v8, v8, v9
	v_mul_hi_u32 v8, v10, v8
	v_mul_lo_u32 v8, v8, s0
	v_sub_u32_e32 v8, v10, v8
	v_subrev_u32_e32 v9, s0, v8
	v_cmp_le_u32_e32 vcc, s0, v8
	v_cndmask_b32_e32 v8, v8, v9, vcc
	v_subrev_u32_e32 v9, s0, v8
	v_cmp_le_u32_e32 vcc, s0, v8
	v_cndmask_b32_e32 v8, v8, v9, vcc
	v_xor_b32_e32 v8, v8, v6
	v_sub_u32_e32 v11, v8, v6
	v_ashrrev_i32_e32 v12, 31, v11
	s_cbranch_scc0 .LBB17_11
; %bb.8:
	v_mov_b32_e32 v9, v11
	s_andn2_b64 vcc, exec, s[12:13]
	v_mov_b32_e32 v10, v12
	s_cbranch_vccnz .LBB17_10
; %bb.9:
	v_mul_lo_u32 v8, s15, v11
	v_mul_lo_u32 v13, s14, v12
	v_mad_u64_u32 v[9:10], s[18:19], s14, v11, 0
	v_add3_u32 v10, v10, v13, v8
.LBB17_10:
	s_cbranch_execz .LBB17_12
	s_branch .LBB17_15
.LBB17_11:
                                        ; implicit-def: $vgpr9_vgpr10
.LBB17_12:
	s_andn2_b64 vcc, exec, s[16:17]
	s_cbranch_vccnz .LBB17_14
; %bb.13:
	v_mul_lo_u32 v8, s15, v11
	v_mul_lo_u32 v9, s14, v12
	v_mad_u64_u32 v[11:12], s[16:17], s14, v11, 0
	v_add3_u32 v12, v12, v9, v8
.LBB17_14:
	v_mov_b32_e32 v9, v11
	v_mov_b32_e32 v10, v12
.LBB17_15:
	s_cmp_eq_u32 s3, 1
	s_cselect_b64 s[16:17], -1, 0
	s_cmpk_eq_i32 s1, 0x6f
	s_cselect_b64 s[18:19], -1, 0
	s_cmpk_lg_i32 s1, 0x6f
	s_cselect_b64 s[0:1], -1, 0
	s_cmp_lg_u32 s3, 1
	v_mov_b32_e32 v8, 0
	s_cbranch_scc0 .LBB17_19
; %bb.16:
	v_mov_b32_e32 v12, v8
	s_andn2_b64 vcc, exec, s[0:1]
	v_mov_b32_e32 v11, v7
	s_cbranch_vccnz .LBB17_18
; %bb.17:
	v_mad_u64_u32 v[11:12], s[0:1], s8, v7, 0
	v_mad_u64_u32 v[12:13], s[0:1], s9, v7, v[12:13]
.LBB17_18:
	s_cbranch_execz .LBB17_20
	s_branch .LBB17_23
.LBB17_19:
                                        ; implicit-def: $vgpr11_vgpr12
.LBB17_20:
	s_andn2_b64 vcc, exec, s[18:19]
	s_cbranch_vccnz .LBB17_22
; %bb.21:
	v_mad_u64_u32 v[11:12], s[0:1], s8, v7, 0
	v_mov_b32_e32 v8, v12
	v_mad_u64_u32 v[7:8], s[0:1], s9, v7, v[8:9]
	v_mov_b32_e32 v12, v7
	v_mov_b32_e32 v7, v11
	;; [unrolled: 1-line block ×3, first 2 shown]
.LBB17_22:
	v_mov_b32_e32 v12, v8
	v_mov_b32_e32 v11, v7
.LBB17_23:
	s_load_dwordx2 s[0:1], s[4:5], 0x50
	s_cmp_lt_i32 s10, 1
	s_cbranch_scc1 .LBB17_26
; %bb.24:
	s_load_dwordx2 s[2:3], s[4:5], 0x38
	s_load_dwordx2 s[20:21], s[4:5], 0x28
	v_lshlrev_b64 v[7:8], 3, v[11:12]
	v_lshlrev_b64 v[9:10], 3, v[9:10]
	s_waitcnt lgkmcnt(0)
	v_mov_b32_e32 v11, s3
	v_add_co_u32_e32 v7, vcc, s2, v7
	s_xor_b64 s[2:3], s[12:13], s[6:7]
	s_and_b64 s[2:3], s[2:3], exec
	s_cselect_b32 s3, 0, s15
	s_cselect_b32 s2, 1, s14
	s_xor_b64 s[4:5], s[18:19], s[16:17]
	v_addc_co_u32_e32 v8, vcc, v11, v8, vcc
	s_and_b64 s[4:5], s[4:5], exec
	v_mov_b32_e32 v11, s21
	v_add_co_u32_e32 v9, vcc, s20, v9
	s_cselect_b32 s5, s9, 0
	s_cselect_b32 s4, s8, 1
	v_addc_co_u32_e32 v10, vcc, v11, v10, vcc
	s_lshl_b64 s[2:3], s[2:3], 3
	s_lshl_b64 s[4:5], s[4:5], 3
	v_mov_b32_e32 v11, 0
	v_mov_b32_e32 v12, 0
	;; [unrolled: 1-line block ×4, first 2 shown]
.LBB17_25:                              ; =>This Inner Loop Header: Depth=1
	global_load_dwordx2 v[15:16], v[9:10], off
	global_load_dwordx2 v[17:18], v[7:8], off
	v_add_co_u32_e32 v9, vcc, s2, v9
	v_addc_co_u32_e32 v10, vcc, v10, v13, vcc
	s_add_i32 s10, s10, -1
	v_add_co_u32_e32 v7, vcc, s4, v7
	s_cmp_eq_u32 s10, 0
	v_addc_co_u32_e32 v8, vcc, v8, v14, vcc
	s_waitcnt vmcnt(0)
	v_fma_f64 v[11:12], v[15:16], v[17:18], v[11:12]
	s_cbranch_scc0 .LBB17_25
	s_branch .LBB17_27
.LBB17_26:
	v_mov_b32_e32 v11, 0
	v_mov_b32_e32 v12, 0
.LBB17_27:
	v_lshlrev_b64 v[5:6], 3, v[5:6]
	s_waitcnt lgkmcnt(0)
	v_mov_b32_e32 v7, s1
	v_add_co_u32_e32 v5, vcc, s0, v5
	v_lshlrev_b32_e32 v0, 3, v0
	v_addc_co_u32_e32 v6, vcc, v7, v6, vcc
	ds_write_b64 v0, v[11:12]
	s_waitcnt lgkmcnt(0)
	s_barrier
	global_load_dwordx2 v[7:8], v[5:6], off
	ds_read_b64 v[9:10], v0
	s_waitcnt lgkmcnt(0)
	v_mul_f64 v[0:1], v[1:2], v[9:10]
	s_waitcnt vmcnt(0)
	v_fma_f64 v[0:1], v[3:4], v[7:8], v[0:1]
	global_store_dwordx2 v[5:6], v[0:1], off
.LBB17_28:
	s_endpgm
	.section	.rodata,"a",@progbits
	.p2align	6, 0x0
	.amdhsa_kernel _ZN9rocsparseL16sddmm_ell_kernelILi512ELi1EdiidddEEv20rocsparse_operation_S1_16rocsparse_order_S2_T3_S3_S3_T2_NS_24const_host_device_scalarIT1_EEPKT4_lPKT5_lS7_PT6_PKS3_21rocsparse_index_base_b
		.amdhsa_group_segment_fixed_size 4096
		.amdhsa_private_segment_fixed_size 0
		.amdhsa_kernarg_size 104
		.amdhsa_user_sgpr_count 6
		.amdhsa_user_sgpr_private_segment_buffer 1
		.amdhsa_user_sgpr_dispatch_ptr 0
		.amdhsa_user_sgpr_queue_ptr 0
		.amdhsa_user_sgpr_kernarg_segment_ptr 1
		.amdhsa_user_sgpr_dispatch_id 0
		.amdhsa_user_sgpr_flat_scratch_init 0
		.amdhsa_user_sgpr_private_segment_size 0
		.amdhsa_uses_dynamic_stack 0
		.amdhsa_system_sgpr_private_segment_wavefront_offset 0
		.amdhsa_system_sgpr_workgroup_id_x 1
		.amdhsa_system_sgpr_workgroup_id_y 0
		.amdhsa_system_sgpr_workgroup_id_z 0
		.amdhsa_system_sgpr_workgroup_info 0
		.amdhsa_system_vgpr_workitem_id 0
		.amdhsa_next_free_vgpr 19
		.amdhsa_next_free_sgpr 22
		.amdhsa_reserve_vcc 1
		.amdhsa_reserve_flat_scratch 0
		.amdhsa_float_round_mode_32 0
		.amdhsa_float_round_mode_16_64 0
		.amdhsa_float_denorm_mode_32 3
		.amdhsa_float_denorm_mode_16_64 3
		.amdhsa_dx10_clamp 1
		.amdhsa_ieee_mode 1
		.amdhsa_fp16_overflow 0
		.amdhsa_exception_fp_ieee_invalid_op 0
		.amdhsa_exception_fp_denorm_src 0
		.amdhsa_exception_fp_ieee_div_zero 0
		.amdhsa_exception_fp_ieee_overflow 0
		.amdhsa_exception_fp_ieee_underflow 0
		.amdhsa_exception_fp_ieee_inexact 0
		.amdhsa_exception_int_div_zero 0
	.end_amdhsa_kernel
	.section	.text._ZN9rocsparseL16sddmm_ell_kernelILi512ELi1EdiidddEEv20rocsparse_operation_S1_16rocsparse_order_S2_T3_S3_S3_T2_NS_24const_host_device_scalarIT1_EEPKT4_lPKT5_lS7_PT6_PKS3_21rocsparse_index_base_b,"axG",@progbits,_ZN9rocsparseL16sddmm_ell_kernelILi512ELi1EdiidddEEv20rocsparse_operation_S1_16rocsparse_order_S2_T3_S3_S3_T2_NS_24const_host_device_scalarIT1_EEPKT4_lPKT5_lS7_PT6_PKS3_21rocsparse_index_base_b,comdat
.Lfunc_end17:
	.size	_ZN9rocsparseL16sddmm_ell_kernelILi512ELi1EdiidddEEv20rocsparse_operation_S1_16rocsparse_order_S2_T3_S3_S3_T2_NS_24const_host_device_scalarIT1_EEPKT4_lPKT5_lS7_PT6_PKS3_21rocsparse_index_base_b, .Lfunc_end17-_ZN9rocsparseL16sddmm_ell_kernelILi512ELi1EdiidddEEv20rocsparse_operation_S1_16rocsparse_order_S2_T3_S3_S3_T2_NS_24const_host_device_scalarIT1_EEPKT4_lPKT5_lS7_PT6_PKS3_21rocsparse_index_base_b
                                        ; -- End function
	.set _ZN9rocsparseL16sddmm_ell_kernelILi512ELi1EdiidddEEv20rocsparse_operation_S1_16rocsparse_order_S2_T3_S3_S3_T2_NS_24const_host_device_scalarIT1_EEPKT4_lPKT5_lS7_PT6_PKS3_21rocsparse_index_base_b.num_vgpr, 19
	.set _ZN9rocsparseL16sddmm_ell_kernelILi512ELi1EdiidddEEv20rocsparse_operation_S1_16rocsparse_order_S2_T3_S3_S3_T2_NS_24const_host_device_scalarIT1_EEPKT4_lPKT5_lS7_PT6_PKS3_21rocsparse_index_base_b.num_agpr, 0
	.set _ZN9rocsparseL16sddmm_ell_kernelILi512ELi1EdiidddEEv20rocsparse_operation_S1_16rocsparse_order_S2_T3_S3_S3_T2_NS_24const_host_device_scalarIT1_EEPKT4_lPKT5_lS7_PT6_PKS3_21rocsparse_index_base_b.numbered_sgpr, 22
	.set _ZN9rocsparseL16sddmm_ell_kernelILi512ELi1EdiidddEEv20rocsparse_operation_S1_16rocsparse_order_S2_T3_S3_S3_T2_NS_24const_host_device_scalarIT1_EEPKT4_lPKT5_lS7_PT6_PKS3_21rocsparse_index_base_b.num_named_barrier, 0
	.set _ZN9rocsparseL16sddmm_ell_kernelILi512ELi1EdiidddEEv20rocsparse_operation_S1_16rocsparse_order_S2_T3_S3_S3_T2_NS_24const_host_device_scalarIT1_EEPKT4_lPKT5_lS7_PT6_PKS3_21rocsparse_index_base_b.private_seg_size, 0
	.set _ZN9rocsparseL16sddmm_ell_kernelILi512ELi1EdiidddEEv20rocsparse_operation_S1_16rocsparse_order_S2_T3_S3_S3_T2_NS_24const_host_device_scalarIT1_EEPKT4_lPKT5_lS7_PT6_PKS3_21rocsparse_index_base_b.uses_vcc, 1
	.set _ZN9rocsparseL16sddmm_ell_kernelILi512ELi1EdiidddEEv20rocsparse_operation_S1_16rocsparse_order_S2_T3_S3_S3_T2_NS_24const_host_device_scalarIT1_EEPKT4_lPKT5_lS7_PT6_PKS3_21rocsparse_index_base_b.uses_flat_scratch, 0
	.set _ZN9rocsparseL16sddmm_ell_kernelILi512ELi1EdiidddEEv20rocsparse_operation_S1_16rocsparse_order_S2_T3_S3_S3_T2_NS_24const_host_device_scalarIT1_EEPKT4_lPKT5_lS7_PT6_PKS3_21rocsparse_index_base_b.has_dyn_sized_stack, 0
	.set _ZN9rocsparseL16sddmm_ell_kernelILi512ELi1EdiidddEEv20rocsparse_operation_S1_16rocsparse_order_S2_T3_S3_S3_T2_NS_24const_host_device_scalarIT1_EEPKT4_lPKT5_lS7_PT6_PKS3_21rocsparse_index_base_b.has_recursion, 0
	.set _ZN9rocsparseL16sddmm_ell_kernelILi512ELi1EdiidddEEv20rocsparse_operation_S1_16rocsparse_order_S2_T3_S3_S3_T2_NS_24const_host_device_scalarIT1_EEPKT4_lPKT5_lS7_PT6_PKS3_21rocsparse_index_base_b.has_indirect_call, 0
	.section	.AMDGPU.csdata,"",@progbits
; Kernel info:
; codeLenInByte = 924
; TotalNumSgprs: 26
; NumVgprs: 19
; ScratchSize: 0
; MemoryBound: 0
; FloatMode: 240
; IeeeMode: 1
; LDSByteSize: 4096 bytes/workgroup (compile time only)
; SGPRBlocks: 3
; VGPRBlocks: 4
; NumSGPRsForWavesPerEU: 26
; NumVGPRsForWavesPerEU: 19
; Occupancy: 10
; WaveLimiterHint : 0
; COMPUTE_PGM_RSRC2:SCRATCH_EN: 0
; COMPUTE_PGM_RSRC2:USER_SGPR: 6
; COMPUTE_PGM_RSRC2:TRAP_HANDLER: 0
; COMPUTE_PGM_RSRC2:TGID_X_EN: 1
; COMPUTE_PGM_RSRC2:TGID_Y_EN: 0
; COMPUTE_PGM_RSRC2:TGID_Z_EN: 0
; COMPUTE_PGM_RSRC2:TIDIG_COMP_CNT: 0
	.section	.text._ZN9rocsparseL23sddmm_ell_sample_kernelILi16ELi32E21rocsparse_complex_numIfEiS2_EEvT2_S3_PKT3_lS3_PS4_PKS3_21rocsparse_index_base_,"axG",@progbits,_ZN9rocsparseL23sddmm_ell_sample_kernelILi16ELi32E21rocsparse_complex_numIfEiS2_EEvT2_S3_PKT3_lS3_PS4_PKS3_21rocsparse_index_base_,comdat
	.globl	_ZN9rocsparseL23sddmm_ell_sample_kernelILi16ELi32E21rocsparse_complex_numIfEiS2_EEvT2_S3_PKT3_lS3_PS4_PKS3_21rocsparse_index_base_ ; -- Begin function _ZN9rocsparseL23sddmm_ell_sample_kernelILi16ELi32E21rocsparse_complex_numIfEiS2_EEvT2_S3_PKT3_lS3_PS4_PKS3_21rocsparse_index_base_
	.p2align	8
	.type	_ZN9rocsparseL23sddmm_ell_sample_kernelILi16ELi32E21rocsparse_complex_numIfEiS2_EEvT2_S3_PKT3_lS3_PS4_PKS3_21rocsparse_index_base_,@function
_ZN9rocsparseL23sddmm_ell_sample_kernelILi16ELi32E21rocsparse_complex_numIfEiS2_EEvT2_S3_PKT3_lS3_PS4_PKS3_21rocsparse_index_base_: ; @_ZN9rocsparseL23sddmm_ell_sample_kernelILi16ELi32E21rocsparse_complex_numIfEiS2_EEvT2_S3_PKT3_lS3_PS4_PKS3_21rocsparse_index_base_
; %bb.0:
	s_load_dword s0, s[4:5], 0x18
	v_lshrrev_b32_e32 v1, 5, v0
	v_lshl_or_b32 v1, s6, 4, v1
	s_waitcnt lgkmcnt(0)
	v_cmp_gt_u32_e32 vcc, s0, v1
	s_and_saveexec_b64 s[0:1], vcc
	s_cbranch_execz .LBB18_6
; %bb.1:
	s_load_dwordx2 s[2:3], s[4:5], 0x0
	v_and_b32_e32 v4, 31, v0
	s_waitcnt lgkmcnt(0)
	v_cmp_gt_i32_e32 vcc, s2, v4
	s_and_b64 exec, exec, vcc
	s_cbranch_execz .LBB18_6
; %bb.2:
	s_load_dwordx4 s[16:19], s[4:5], 0x8
	s_load_dwordx4 s[8:11], s[4:5], 0x20
	s_load_dword s12, s[4:5], 0x30
	v_mul_lo_u32 v5, v1, s2
	v_and_b32_e32 v0, 31, v0
	v_lshlrev_b32_e32 v0, 3, v0
	s_waitcnt lgkmcnt(0)
	v_mov_b32_e32 v3, s17
	v_add_co_u32_e32 v2, vcc, s16, v0
	s_lshl_b64 s[4:5], s[18:19], 3
	v_mov_b32_e32 v1, 0
	v_addc_co_u32_e32 v3, vcc, 0, v3, vcc
	s_mov_b64 s[6:7], 0
	v_mov_b32_e32 v6, s11
	s_branch .LBB18_4
.LBB18_3:                               ;   in Loop: Header=BB18_4 Depth=1
	s_or_b64 exec, exec, s[0:1]
	v_add_u32_e32 v4, 32, v4
	v_add_co_u32_e32 v2, vcc, 0x100, v2
	v_cmp_le_i32_e64 s[0:1], s2, v4
	s_or_b64 s[6:7], s[0:1], s[6:7]
	v_addc_co_u32_e32 v3, vcc, 0, v3, vcc
	s_andn2_b64 exec, exec, s[6:7]
	s_cbranch_execz .LBB18_6
.LBB18_4:                               ; =>This Inner Loop Header: Depth=1
	v_add_u32_e32 v0, v5, v4
	v_lshlrev_b64 v[7:8], 2, v[0:1]
	v_add_co_u32_e32 v7, vcc, s10, v7
	v_addc_co_u32_e32 v8, vcc, v6, v8, vcc
	global_load_dword v7, v[7:8], off
	s_waitcnt vmcnt(0)
	v_subrev_u32_e32 v7, s12, v7
	v_cmp_lt_i32_e32 vcc, -1, v7
	v_cmp_gt_i32_e64 s[0:1], s3, v7
	s_and_b64 s[14:15], vcc, s[0:1]
	s_and_saveexec_b64 s[0:1], s[14:15]
	s_cbranch_execz .LBB18_3
; %bb.5:                                ;   in Loop: Header=BB18_4 Depth=1
	v_mad_u64_u32 v[8:9], s[14:15], s4, v7, v[2:3]
	v_mad_u64_u32 v[9:10], s[14:15], s5, v7, v[9:10]
	global_load_dwordx2 v[7:8], v[8:9], off
	v_lshlrev_b64 v[9:10], 3, v[0:1]
	v_mov_b32_e32 v0, s9
	v_add_co_u32_e32 v9, vcc, s8, v9
	v_addc_co_u32_e32 v10, vcc, v0, v10, vcc
	s_waitcnt vmcnt(0)
	global_store_dwordx2 v[9:10], v[7:8], off
	s_branch .LBB18_3
.LBB18_6:
	s_endpgm
	.section	.rodata,"a",@progbits
	.p2align	6, 0x0
	.amdhsa_kernel _ZN9rocsparseL23sddmm_ell_sample_kernelILi16ELi32E21rocsparse_complex_numIfEiS2_EEvT2_S3_PKT3_lS3_PS4_PKS3_21rocsparse_index_base_
		.amdhsa_group_segment_fixed_size 0
		.amdhsa_private_segment_fixed_size 0
		.amdhsa_kernarg_size 52
		.amdhsa_user_sgpr_count 6
		.amdhsa_user_sgpr_private_segment_buffer 1
		.amdhsa_user_sgpr_dispatch_ptr 0
		.amdhsa_user_sgpr_queue_ptr 0
		.amdhsa_user_sgpr_kernarg_segment_ptr 1
		.amdhsa_user_sgpr_dispatch_id 0
		.amdhsa_user_sgpr_flat_scratch_init 0
		.amdhsa_user_sgpr_private_segment_size 0
		.amdhsa_uses_dynamic_stack 0
		.amdhsa_system_sgpr_private_segment_wavefront_offset 0
		.amdhsa_system_sgpr_workgroup_id_x 1
		.amdhsa_system_sgpr_workgroup_id_y 0
		.amdhsa_system_sgpr_workgroup_id_z 0
		.amdhsa_system_sgpr_workgroup_info 0
		.amdhsa_system_vgpr_workitem_id 0
		.amdhsa_next_free_vgpr 11
		.amdhsa_next_free_sgpr 20
		.amdhsa_reserve_vcc 1
		.amdhsa_reserve_flat_scratch 0
		.amdhsa_float_round_mode_32 0
		.amdhsa_float_round_mode_16_64 0
		.amdhsa_float_denorm_mode_32 3
		.amdhsa_float_denorm_mode_16_64 3
		.amdhsa_dx10_clamp 1
		.amdhsa_ieee_mode 1
		.amdhsa_fp16_overflow 0
		.amdhsa_exception_fp_ieee_invalid_op 0
		.amdhsa_exception_fp_denorm_src 0
		.amdhsa_exception_fp_ieee_div_zero 0
		.amdhsa_exception_fp_ieee_overflow 0
		.amdhsa_exception_fp_ieee_underflow 0
		.amdhsa_exception_fp_ieee_inexact 0
		.amdhsa_exception_int_div_zero 0
	.end_amdhsa_kernel
	.section	.text._ZN9rocsparseL23sddmm_ell_sample_kernelILi16ELi32E21rocsparse_complex_numIfEiS2_EEvT2_S3_PKT3_lS3_PS4_PKS3_21rocsparse_index_base_,"axG",@progbits,_ZN9rocsparseL23sddmm_ell_sample_kernelILi16ELi32E21rocsparse_complex_numIfEiS2_EEvT2_S3_PKT3_lS3_PS4_PKS3_21rocsparse_index_base_,comdat
.Lfunc_end18:
	.size	_ZN9rocsparseL23sddmm_ell_sample_kernelILi16ELi32E21rocsparse_complex_numIfEiS2_EEvT2_S3_PKT3_lS3_PS4_PKS3_21rocsparse_index_base_, .Lfunc_end18-_ZN9rocsparseL23sddmm_ell_sample_kernelILi16ELi32E21rocsparse_complex_numIfEiS2_EEvT2_S3_PKT3_lS3_PS4_PKS3_21rocsparse_index_base_
                                        ; -- End function
	.set _ZN9rocsparseL23sddmm_ell_sample_kernelILi16ELi32E21rocsparse_complex_numIfEiS2_EEvT2_S3_PKT3_lS3_PS4_PKS3_21rocsparse_index_base_.num_vgpr, 11
	.set _ZN9rocsparseL23sddmm_ell_sample_kernelILi16ELi32E21rocsparse_complex_numIfEiS2_EEvT2_S3_PKT3_lS3_PS4_PKS3_21rocsparse_index_base_.num_agpr, 0
	.set _ZN9rocsparseL23sddmm_ell_sample_kernelILi16ELi32E21rocsparse_complex_numIfEiS2_EEvT2_S3_PKT3_lS3_PS4_PKS3_21rocsparse_index_base_.numbered_sgpr, 20
	.set _ZN9rocsparseL23sddmm_ell_sample_kernelILi16ELi32E21rocsparse_complex_numIfEiS2_EEvT2_S3_PKT3_lS3_PS4_PKS3_21rocsparse_index_base_.num_named_barrier, 0
	.set _ZN9rocsparseL23sddmm_ell_sample_kernelILi16ELi32E21rocsparse_complex_numIfEiS2_EEvT2_S3_PKT3_lS3_PS4_PKS3_21rocsparse_index_base_.private_seg_size, 0
	.set _ZN9rocsparseL23sddmm_ell_sample_kernelILi16ELi32E21rocsparse_complex_numIfEiS2_EEvT2_S3_PKT3_lS3_PS4_PKS3_21rocsparse_index_base_.uses_vcc, 1
	.set _ZN9rocsparseL23sddmm_ell_sample_kernelILi16ELi32E21rocsparse_complex_numIfEiS2_EEvT2_S3_PKT3_lS3_PS4_PKS3_21rocsparse_index_base_.uses_flat_scratch, 0
	.set _ZN9rocsparseL23sddmm_ell_sample_kernelILi16ELi32E21rocsparse_complex_numIfEiS2_EEvT2_S3_PKT3_lS3_PS4_PKS3_21rocsparse_index_base_.has_dyn_sized_stack, 0
	.set _ZN9rocsparseL23sddmm_ell_sample_kernelILi16ELi32E21rocsparse_complex_numIfEiS2_EEvT2_S3_PKT3_lS3_PS4_PKS3_21rocsparse_index_base_.has_recursion, 0
	.set _ZN9rocsparseL23sddmm_ell_sample_kernelILi16ELi32E21rocsparse_complex_numIfEiS2_EEvT2_S3_PKT3_lS3_PS4_PKS3_21rocsparse_index_base_.has_indirect_call, 0
	.section	.AMDGPU.csdata,"",@progbits
; Kernel info:
; codeLenInByte = 304
; TotalNumSgprs: 24
; NumVgprs: 11
; ScratchSize: 0
; MemoryBound: 0
; FloatMode: 240
; IeeeMode: 1
; LDSByteSize: 0 bytes/workgroup (compile time only)
; SGPRBlocks: 2
; VGPRBlocks: 2
; NumSGPRsForWavesPerEU: 24
; NumVGPRsForWavesPerEU: 11
; Occupancy: 10
; WaveLimiterHint : 1
; COMPUTE_PGM_RSRC2:SCRATCH_EN: 0
; COMPUTE_PGM_RSRC2:USER_SGPR: 6
; COMPUTE_PGM_RSRC2:TRAP_HANDLER: 0
; COMPUTE_PGM_RSRC2:TGID_X_EN: 1
; COMPUTE_PGM_RSRC2:TGID_Y_EN: 0
; COMPUTE_PGM_RSRC2:TGID_Z_EN: 0
; COMPUTE_PGM_RSRC2:TIDIG_COMP_CNT: 0
	.section	.text._ZN9rocsparseL23sddmm_ell_sample_kernelILi16ELi64E21rocsparse_complex_numIfEiS2_EEvT2_S3_PKT3_lS3_PS4_PKS3_21rocsparse_index_base_,"axG",@progbits,_ZN9rocsparseL23sddmm_ell_sample_kernelILi16ELi64E21rocsparse_complex_numIfEiS2_EEvT2_S3_PKT3_lS3_PS4_PKS3_21rocsparse_index_base_,comdat
	.globl	_ZN9rocsparseL23sddmm_ell_sample_kernelILi16ELi64E21rocsparse_complex_numIfEiS2_EEvT2_S3_PKT3_lS3_PS4_PKS3_21rocsparse_index_base_ ; -- Begin function _ZN9rocsparseL23sddmm_ell_sample_kernelILi16ELi64E21rocsparse_complex_numIfEiS2_EEvT2_S3_PKT3_lS3_PS4_PKS3_21rocsparse_index_base_
	.p2align	8
	.type	_ZN9rocsparseL23sddmm_ell_sample_kernelILi16ELi64E21rocsparse_complex_numIfEiS2_EEvT2_S3_PKT3_lS3_PS4_PKS3_21rocsparse_index_base_,@function
_ZN9rocsparseL23sddmm_ell_sample_kernelILi16ELi64E21rocsparse_complex_numIfEiS2_EEvT2_S3_PKT3_lS3_PS4_PKS3_21rocsparse_index_base_: ; @_ZN9rocsparseL23sddmm_ell_sample_kernelILi16ELi64E21rocsparse_complex_numIfEiS2_EEvT2_S3_PKT3_lS3_PS4_PKS3_21rocsparse_index_base_
; %bb.0:
	s_load_dword s0, s[4:5], 0x18
	v_lshrrev_b32_e32 v1, 6, v0
	v_lshl_or_b32 v1, s6, 4, v1
	s_waitcnt lgkmcnt(0)
	v_cmp_gt_u32_e32 vcc, s0, v1
	s_and_saveexec_b64 s[0:1], vcc
	s_cbranch_execz .LBB19_6
; %bb.1:
	s_load_dwordx2 s[2:3], s[4:5], 0x0
	v_and_b32_e32 v4, 63, v0
	s_waitcnt lgkmcnt(0)
	v_cmp_gt_i32_e32 vcc, s2, v4
	s_and_b64 exec, exec, vcc
	s_cbranch_execz .LBB19_6
; %bb.2:
	s_load_dwordx4 s[16:19], s[4:5], 0x8
	s_load_dwordx4 s[8:11], s[4:5], 0x20
	s_load_dword s12, s[4:5], 0x30
	v_mul_lo_u32 v5, v1, s2
	v_and_b32_e32 v0, 63, v0
	v_lshlrev_b32_e32 v0, 3, v0
	s_waitcnt lgkmcnt(0)
	v_mov_b32_e32 v3, s17
	v_add_co_u32_e32 v2, vcc, s16, v0
	s_lshl_b64 s[4:5], s[18:19], 3
	v_mov_b32_e32 v1, 0
	v_addc_co_u32_e32 v3, vcc, 0, v3, vcc
	s_mov_b64 s[6:7], 0
	v_mov_b32_e32 v6, s11
	s_branch .LBB19_4
.LBB19_3:                               ;   in Loop: Header=BB19_4 Depth=1
	s_or_b64 exec, exec, s[0:1]
	v_add_u32_e32 v4, 64, v4
	v_add_co_u32_e32 v2, vcc, 0x200, v2
	v_cmp_le_i32_e64 s[0:1], s2, v4
	s_or_b64 s[6:7], s[0:1], s[6:7]
	v_addc_co_u32_e32 v3, vcc, 0, v3, vcc
	s_andn2_b64 exec, exec, s[6:7]
	s_cbranch_execz .LBB19_6
.LBB19_4:                               ; =>This Inner Loop Header: Depth=1
	v_add_u32_e32 v0, v5, v4
	v_lshlrev_b64 v[7:8], 2, v[0:1]
	v_add_co_u32_e32 v7, vcc, s10, v7
	v_addc_co_u32_e32 v8, vcc, v6, v8, vcc
	global_load_dword v7, v[7:8], off
	s_waitcnt vmcnt(0)
	v_subrev_u32_e32 v7, s12, v7
	v_cmp_lt_i32_e32 vcc, -1, v7
	v_cmp_gt_i32_e64 s[0:1], s3, v7
	s_and_b64 s[14:15], vcc, s[0:1]
	s_and_saveexec_b64 s[0:1], s[14:15]
	s_cbranch_execz .LBB19_3
; %bb.5:                                ;   in Loop: Header=BB19_4 Depth=1
	v_mad_u64_u32 v[8:9], s[14:15], s4, v7, v[2:3]
	v_mad_u64_u32 v[9:10], s[14:15], s5, v7, v[9:10]
	global_load_dwordx2 v[7:8], v[8:9], off
	v_lshlrev_b64 v[9:10], 3, v[0:1]
	v_mov_b32_e32 v0, s9
	v_add_co_u32_e32 v9, vcc, s8, v9
	v_addc_co_u32_e32 v10, vcc, v0, v10, vcc
	s_waitcnt vmcnt(0)
	global_store_dwordx2 v[9:10], v[7:8], off
	s_branch .LBB19_3
.LBB19_6:
	s_endpgm
	.section	.rodata,"a",@progbits
	.p2align	6, 0x0
	.amdhsa_kernel _ZN9rocsparseL23sddmm_ell_sample_kernelILi16ELi64E21rocsparse_complex_numIfEiS2_EEvT2_S3_PKT3_lS3_PS4_PKS3_21rocsparse_index_base_
		.amdhsa_group_segment_fixed_size 0
		.amdhsa_private_segment_fixed_size 0
		.amdhsa_kernarg_size 52
		.amdhsa_user_sgpr_count 6
		.amdhsa_user_sgpr_private_segment_buffer 1
		.amdhsa_user_sgpr_dispatch_ptr 0
		.amdhsa_user_sgpr_queue_ptr 0
		.amdhsa_user_sgpr_kernarg_segment_ptr 1
		.amdhsa_user_sgpr_dispatch_id 0
		.amdhsa_user_sgpr_flat_scratch_init 0
		.amdhsa_user_sgpr_private_segment_size 0
		.amdhsa_uses_dynamic_stack 0
		.amdhsa_system_sgpr_private_segment_wavefront_offset 0
		.amdhsa_system_sgpr_workgroup_id_x 1
		.amdhsa_system_sgpr_workgroup_id_y 0
		.amdhsa_system_sgpr_workgroup_id_z 0
		.amdhsa_system_sgpr_workgroup_info 0
		.amdhsa_system_vgpr_workitem_id 0
		.amdhsa_next_free_vgpr 11
		.amdhsa_next_free_sgpr 20
		.amdhsa_reserve_vcc 1
		.amdhsa_reserve_flat_scratch 0
		.amdhsa_float_round_mode_32 0
		.amdhsa_float_round_mode_16_64 0
		.amdhsa_float_denorm_mode_32 3
		.amdhsa_float_denorm_mode_16_64 3
		.amdhsa_dx10_clamp 1
		.amdhsa_ieee_mode 1
		.amdhsa_fp16_overflow 0
		.amdhsa_exception_fp_ieee_invalid_op 0
		.amdhsa_exception_fp_denorm_src 0
		.amdhsa_exception_fp_ieee_div_zero 0
		.amdhsa_exception_fp_ieee_overflow 0
		.amdhsa_exception_fp_ieee_underflow 0
		.amdhsa_exception_fp_ieee_inexact 0
		.amdhsa_exception_int_div_zero 0
	.end_amdhsa_kernel
	.section	.text._ZN9rocsparseL23sddmm_ell_sample_kernelILi16ELi64E21rocsparse_complex_numIfEiS2_EEvT2_S3_PKT3_lS3_PS4_PKS3_21rocsparse_index_base_,"axG",@progbits,_ZN9rocsparseL23sddmm_ell_sample_kernelILi16ELi64E21rocsparse_complex_numIfEiS2_EEvT2_S3_PKT3_lS3_PS4_PKS3_21rocsparse_index_base_,comdat
.Lfunc_end19:
	.size	_ZN9rocsparseL23sddmm_ell_sample_kernelILi16ELi64E21rocsparse_complex_numIfEiS2_EEvT2_S3_PKT3_lS3_PS4_PKS3_21rocsparse_index_base_, .Lfunc_end19-_ZN9rocsparseL23sddmm_ell_sample_kernelILi16ELi64E21rocsparse_complex_numIfEiS2_EEvT2_S3_PKT3_lS3_PS4_PKS3_21rocsparse_index_base_
                                        ; -- End function
	.set _ZN9rocsparseL23sddmm_ell_sample_kernelILi16ELi64E21rocsparse_complex_numIfEiS2_EEvT2_S3_PKT3_lS3_PS4_PKS3_21rocsparse_index_base_.num_vgpr, 11
	.set _ZN9rocsparseL23sddmm_ell_sample_kernelILi16ELi64E21rocsparse_complex_numIfEiS2_EEvT2_S3_PKT3_lS3_PS4_PKS3_21rocsparse_index_base_.num_agpr, 0
	.set _ZN9rocsparseL23sddmm_ell_sample_kernelILi16ELi64E21rocsparse_complex_numIfEiS2_EEvT2_S3_PKT3_lS3_PS4_PKS3_21rocsparse_index_base_.numbered_sgpr, 20
	.set _ZN9rocsparseL23sddmm_ell_sample_kernelILi16ELi64E21rocsparse_complex_numIfEiS2_EEvT2_S3_PKT3_lS3_PS4_PKS3_21rocsparse_index_base_.num_named_barrier, 0
	.set _ZN9rocsparseL23sddmm_ell_sample_kernelILi16ELi64E21rocsparse_complex_numIfEiS2_EEvT2_S3_PKT3_lS3_PS4_PKS3_21rocsparse_index_base_.private_seg_size, 0
	.set _ZN9rocsparseL23sddmm_ell_sample_kernelILi16ELi64E21rocsparse_complex_numIfEiS2_EEvT2_S3_PKT3_lS3_PS4_PKS3_21rocsparse_index_base_.uses_vcc, 1
	.set _ZN9rocsparseL23sddmm_ell_sample_kernelILi16ELi64E21rocsparse_complex_numIfEiS2_EEvT2_S3_PKT3_lS3_PS4_PKS3_21rocsparse_index_base_.uses_flat_scratch, 0
	.set _ZN9rocsparseL23sddmm_ell_sample_kernelILi16ELi64E21rocsparse_complex_numIfEiS2_EEvT2_S3_PKT3_lS3_PS4_PKS3_21rocsparse_index_base_.has_dyn_sized_stack, 0
	.set _ZN9rocsparseL23sddmm_ell_sample_kernelILi16ELi64E21rocsparse_complex_numIfEiS2_EEvT2_S3_PKT3_lS3_PS4_PKS3_21rocsparse_index_base_.has_recursion, 0
	.set _ZN9rocsparseL23sddmm_ell_sample_kernelILi16ELi64E21rocsparse_complex_numIfEiS2_EEvT2_S3_PKT3_lS3_PS4_PKS3_21rocsparse_index_base_.has_indirect_call, 0
	.section	.AMDGPU.csdata,"",@progbits
; Kernel info:
; codeLenInByte = 304
; TotalNumSgprs: 24
; NumVgprs: 11
; ScratchSize: 0
; MemoryBound: 0
; FloatMode: 240
; IeeeMode: 1
; LDSByteSize: 0 bytes/workgroup (compile time only)
; SGPRBlocks: 2
; VGPRBlocks: 2
; NumSGPRsForWavesPerEU: 24
; NumVGPRsForWavesPerEU: 11
; Occupancy: 10
; WaveLimiterHint : 1
; COMPUTE_PGM_RSRC2:SCRATCH_EN: 0
; COMPUTE_PGM_RSRC2:USER_SGPR: 6
; COMPUTE_PGM_RSRC2:TRAP_HANDLER: 0
; COMPUTE_PGM_RSRC2:TGID_X_EN: 1
; COMPUTE_PGM_RSRC2:TGID_Y_EN: 0
; COMPUTE_PGM_RSRC2:TGID_Z_EN: 0
; COMPUTE_PGM_RSRC2:TIDIG_COMP_CNT: 0
	.section	.text._ZN9rocsparseL16sddmm_ell_kernelILi512ELi8E21rocsparse_complex_numIfEiiS2_S2_S2_EEv20rocsparse_operation_S3_16rocsparse_order_S4_T3_S5_S5_T2_NS_24const_host_device_scalarIT1_EEPKT4_lPKT5_lS9_PT6_PKS5_21rocsparse_index_base_b,"axG",@progbits,_ZN9rocsparseL16sddmm_ell_kernelILi512ELi8E21rocsparse_complex_numIfEiiS2_S2_S2_EEv20rocsparse_operation_S3_16rocsparse_order_S4_T3_S5_S5_T2_NS_24const_host_device_scalarIT1_EEPKT4_lPKT5_lS9_PT6_PKS5_21rocsparse_index_base_b,comdat
	.globl	_ZN9rocsparseL16sddmm_ell_kernelILi512ELi8E21rocsparse_complex_numIfEiiS2_S2_S2_EEv20rocsparse_operation_S3_16rocsparse_order_S4_T3_S5_S5_T2_NS_24const_host_device_scalarIT1_EEPKT4_lPKT5_lS9_PT6_PKS5_21rocsparse_index_base_b ; -- Begin function _ZN9rocsparseL16sddmm_ell_kernelILi512ELi8E21rocsparse_complex_numIfEiiS2_S2_S2_EEv20rocsparse_operation_S3_16rocsparse_order_S4_T3_S5_S5_T2_NS_24const_host_device_scalarIT1_EEPKT4_lPKT5_lS9_PT6_PKS5_21rocsparse_index_base_b
	.p2align	8
	.type	_ZN9rocsparseL16sddmm_ell_kernelILi512ELi8E21rocsparse_complex_numIfEiiS2_S2_S2_EEv20rocsparse_operation_S3_16rocsparse_order_S4_T3_S5_S5_T2_NS_24const_host_device_scalarIT1_EEPKT4_lPKT5_lS9_PT6_PKS5_21rocsparse_index_base_b,@function
_ZN9rocsparseL16sddmm_ell_kernelILi512ELi8E21rocsparse_complex_numIfEiiS2_S2_S2_EEv20rocsparse_operation_S3_16rocsparse_order_S4_T3_S5_S5_T2_NS_24const_host_device_scalarIT1_EEPKT4_lPKT5_lS9_PT6_PKS5_21rocsparse_index_base_b: ; @_ZN9rocsparseL16sddmm_ell_kernelILi512ELi8E21rocsparse_complex_numIfEiiS2_S2_S2_EEv20rocsparse_operation_S3_16rocsparse_order_S4_T3_S5_S5_T2_NS_24const_host_device_scalarIT1_EEPKT4_lPKT5_lS9_PT6_PKS5_21rocsparse_index_base_b
; %bb.0:
	s_load_dwordx2 s[0:1], s[4:5], 0x20
	s_load_dwordx4 s[8:11], s[4:5], 0x40
	s_load_dwordx2 s[2:3], s[4:5], 0x60
	s_add_u32 s7, s4, 32
	s_addc_u32 s12, s5, 0
	s_add_u32 s13, s4, 0x48
	s_addc_u32 s14, s5, 0
	s_waitcnt lgkmcnt(0)
	s_bitcmp1_b32 s3, 0
	s_cselect_b32 s1, s12, s1
	s_cselect_b32 s0, s7, s0
	v_mov_b32_e32 v1, s0
	v_mov_b32_e32 v2, s1
	flat_load_dwordx2 v[1:2], v[1:2]
	s_cselect_b32 s0, s14, s11
	s_cselect_b32 s1, s13, s10
	v_mov_b32_e32 v3, s1
	v_mov_b32_e32 v4, s0
	flat_load_dwordx2 v[3:4], v[3:4]
	s_mov_b64 s[0:1], -1
	s_waitcnt vmcnt(0) lgkmcnt(0)
	v_or_b32_e32 v5, v1, v2
	v_and_b32_e32 v5, 0x7fffffff, v5
	v_cmp_eq_u32_e32 vcc, 0, v5
	s_and_saveexec_b64 s[10:11], vcc
; %bb.1:
	v_cmp_neq_f32_e32 vcc, 1.0, v3
	v_cmp_neq_f32_e64 s[0:1], 0, v4
	s_or_b64 s[0:1], vcc, s[0:1]
	s_orn2_b64 s[0:1], s[0:1], exec
; %bb.2:
	s_or_b64 exec, exec, s[10:11]
	s_and_saveexec_b64 s[10:11], s[0:1]
	s_cbranch_execz .LBB20_33
; %bb.3:
	s_load_dwordx2 s[10:11], s[4:5], 0x18
	v_lshrrev_b32_e32 v13, 3, v0
	v_lshl_or_b32 v5, s6, 6, v13
	s_waitcnt lgkmcnt(0)
	v_cmp_gt_i32_e32 vcc, s11, v5
	s_and_b64 exec, exec, vcc
	s_cbranch_execz .LBB20_33
; %bb.4:
	s_load_dwordx2 s[0:1], s[4:5], 0x58
	v_ashrrev_i32_e32 v6, 31, v5
	v_lshlrev_b64 v[7:8], 2, v[5:6]
	s_waitcnt lgkmcnt(0)
	v_mov_b32_e32 v9, s1
	v_add_co_u32_e32 v7, vcc, s0, v7
	v_addc_co_u32_e32 v8, vcc, v9, v8, vcc
	global_load_dword v7, v[7:8], off
	s_waitcnt vmcnt(0)
	v_subrev_u32_e32 v7, s2, v7
	v_cmp_lt_i32_e32 vcc, -1, v7
	s_and_b64 exec, exec, vcc
	s_cbranch_execz .LBB20_33
; %bb.5:
	s_load_dwordx4 s[0:3], s[4:5], 0x0
	s_load_dword s11, s[4:5], 0x10
	v_sub_u32_e32 v10, 0, v5
	v_max_i32_e32 v10, v5, v10
	s_load_dwordx2 s[14:15], s[4:5], 0x30
	s_waitcnt lgkmcnt(0)
	s_cmp_eq_u32 s2, 1
	s_cselect_b64 s[6:7], -1, 0
	s_cmpk_eq_i32 s0, 0x6f
	s_cselect_b64 s[12:13], -1, 0
	s_cmpk_lg_i32 s0, 0x6f
	s_cselect_b64 s[16:17], -1, 0
	s_abs_i32 s0, s11
	v_cvt_f32_u32_e32 v8, s0
	s_sub_i32 s11, 0, s0
	s_cmp_lg_u32 s2, 1
	v_rcp_iflag_f32_e32 v8, v8
	v_mul_f32_e32 v8, 0x4f7ffffe, v8
	v_cvt_u32_f32_e32 v8, v8
	v_mul_lo_u32 v9, s11, v8
	v_mul_hi_u32 v9, v8, v9
	v_add_u32_e32 v8, v8, v9
	v_mul_hi_u32 v8, v10, v8
	v_mul_lo_u32 v8, v8, s0
	v_sub_u32_e32 v8, v10, v8
	v_subrev_u32_e32 v9, s0, v8
	v_cmp_le_u32_e32 vcc, s0, v8
	v_cndmask_b32_e32 v8, v8, v9, vcc
	v_subrev_u32_e32 v9, s0, v8
	v_cmp_le_u32_e32 vcc, s0, v8
	v_cndmask_b32_e32 v8, v8, v9, vcc
	v_xor_b32_e32 v8, v8, v6
	v_sub_u32_e32 v11, v8, v6
	v_ashrrev_i32_e32 v12, 31, v11
	s_cbranch_scc0 .LBB20_9
; %bb.6:
	v_mov_b32_e32 v9, v11
	s_andn2_b64 vcc, exec, s[12:13]
	v_mov_b32_e32 v10, v12
	s_cbranch_vccnz .LBB20_8
; %bb.7:
	v_mul_lo_u32 v8, s15, v11
	v_mul_lo_u32 v14, s14, v12
	v_mad_u64_u32 v[9:10], s[18:19], s14, v11, 0
	v_add3_u32 v10, v10, v14, v8
.LBB20_8:
	s_cbranch_execz .LBB20_10
	s_branch .LBB20_13
.LBB20_9:
                                        ; implicit-def: $vgpr9_vgpr10
.LBB20_10:
	s_andn2_b64 vcc, exec, s[16:17]
	s_cbranch_vccnz .LBB20_12
; %bb.11:
	v_mul_lo_u32 v8, s15, v11
	v_mul_lo_u32 v9, s14, v12
	v_mad_u64_u32 v[11:12], s[16:17], s14, v11, 0
	v_add3_u32 v12, v12, v9, v8
.LBB20_12:
	v_mov_b32_e32 v9, v11
	v_mov_b32_e32 v10, v12
.LBB20_13:
	s_cmp_eq_u32 s3, 1
	s_cselect_b64 s[16:17], -1, 0
	s_cmpk_eq_i32 s1, 0x6f
	s_cselect_b64 s[18:19], -1, 0
	s_cmpk_lg_i32 s1, 0x6f
	s_cselect_b64 s[0:1], -1, 0
	s_cmp_lg_u32 s3, 1
	v_mov_b32_e32 v8, 0
	s_cbranch_scc0 .LBB20_17
; %bb.14:
	v_mov_b32_e32 v12, v8
	s_andn2_b64 vcc, exec, s[0:1]
	v_mov_b32_e32 v11, v7
	s_cbranch_vccnz .LBB20_16
; %bb.15:
	v_mad_u64_u32 v[11:12], s[0:1], s8, v7, 0
	v_mad_u64_u32 v[14:15], s[0:1], s9, v7, v[12:13]
	v_mov_b32_e32 v12, v14
.LBB20_16:
	s_cbranch_execz .LBB20_18
	s_branch .LBB20_21
.LBB20_17:
                                        ; implicit-def: $vgpr11_vgpr12
.LBB20_18:
	s_andn2_b64 vcc, exec, s[18:19]
	s_cbranch_vccnz .LBB20_20
; %bb.19:
	v_mad_u64_u32 v[11:12], s[0:1], s8, v7, 0
	v_mov_b32_e32 v8, v12
	v_mad_u64_u32 v[7:8], s[0:1], s9, v7, v[8:9]
	v_mov_b32_e32 v12, v7
	v_mov_b32_e32 v7, v11
	;; [unrolled: 1-line block ×3, first 2 shown]
.LBB20_20:
	v_mov_b32_e32 v12, v8
	v_mov_b32_e32 v11, v7
.LBB20_21:
	s_load_dwordx2 s[0:1], s[4:5], 0x50
	v_and_b32_e32 v14, 7, v0
	v_cmp_gt_i32_e32 vcc, s10, v14
	v_mov_b32_e32 v8, 0
	v_mov_b32_e32 v7, 0
	s_and_saveexec_b64 s[2:3], vcc
	s_cbranch_execz .LBB20_25
; %bb.22:
	s_xor_b64 s[6:7], s[12:13], s[6:7]
	s_and_b64 s[6:7], s[6:7], exec
	s_cselect_b32 s6, 1, s14
	v_and_b32_e32 v17, 7, v0
	v_mad_u64_u32 v[7:8], s[12:13], s6, v17, 0
	s_cselect_b32 s7, 0, s15
	s_load_dwordx2 s[12:13], s[4:5], 0x28
	s_load_dwordx2 s[20:21], s[4:5], 0x38
	v_mov_b32_e32 v0, v8
	v_mad_u64_u32 v[15:16], s[14:15], s7, v17, v[0:1]
	s_xor_b64 s[4:5], s[18:19], s[16:17]
	s_and_b64 s[4:5], s[4:5], exec
	s_cselect_b32 s8, s8, 1
	v_mov_b32_e32 v8, v15
	v_mad_u64_u32 v[15:16], s[4:5], s8, v17, 0
	v_lshlrev_b64 v[7:8], 3, v[7:8]
	v_lshlrev_b64 v[9:10], 3, v[9:10]
	s_cselect_b32 s9, s9, 0
	v_add_co_u32_e32 v9, vcc, v7, v9
	v_mov_b32_e32 v0, v16
	v_addc_co_u32_e32 v10, vcc, v8, v10, vcc
	v_mad_u64_u32 v[7:8], s[4:5], s9, v17, v[0:1]
	s_waitcnt lgkmcnt(0)
	v_mov_b32_e32 v18, s13
	v_add_co_u32_e32 v9, vcc, s12, v9
	v_mov_b32_e32 v16, v7
	v_lshlrev_b64 v[7:8], 3, v[15:16]
	v_lshlrev_b64 v[11:12], 3, v[11:12]
	v_addc_co_u32_e32 v10, vcc, v18, v10, vcc
	v_add_co_u32_e32 v0, vcc, v7, v11
	v_addc_co_u32_e32 v7, vcc, v8, v12, vcc
	v_mov_b32_e32 v8, s21
	v_add_co_u32_e32 v0, vcc, s20, v0
	v_addc_co_u32_e32 v7, vcc, v8, v7, vcc
	s_lshl_b64 s[4:5], s[6:7], 6
	v_add_co_u32_e32 v11, vcc, 4, v0
	s_lshl_b64 s[6:7], s[8:9], 6
	v_mov_b32_e32 v8, 0
	v_addc_co_u32_e32 v12, vcc, 0, v7, vcc
	s_mov_b64 s[8:9], 0
	v_mov_b32_e32 v0, s5
	v_mov_b32_e32 v15, s7
	;; [unrolled: 1-line block ×4, first 2 shown]
.LBB20_23:                              ; =>This Inner Loop Header: Depth=1
	global_load_dwordx2 v[17:18], v[9:10], off
	global_load_dwordx2 v[19:20], v[11:12], off offset:-4
	v_add_co_u32_e32 v9, vcc, s4, v9
	v_addc_co_u32_e32 v10, vcc, v10, v0, vcc
	v_add_co_u32_e32 v11, vcc, s6, v11
	v_add_u32_e32 v16, 8, v16
	v_addc_co_u32_e32 v12, vcc, v12, v15, vcc
	v_cmp_le_i32_e32 vcc, s10, v16
	s_or_b64 s[8:9], vcc, s[8:9]
	s_waitcnt vmcnt(0)
	v_mul_f32_e64 v21, v20, -v18
	v_mul_f32_e32 v20, v20, v17
	v_fmac_f32_e32 v21, v17, v19
	v_fmac_f32_e32 v20, v18, v19
	v_add_f32_e32 v7, v7, v21
	v_add_f32_e32 v8, v8, v20
	s_andn2_b64 exec, exec, s[8:9]
	s_cbranch_execnz .LBB20_23
; %bb.24:
	s_or_b64 exec, exec, s[8:9]
.LBB20_25:
	s_or_b64 exec, exec, s[2:3]
	v_lshlrev_b32_e32 v0, 6, v13
	v_lshl_or_b32 v9, v14, 3, v0
	v_cmp_gt_u32_e32 vcc, 4, v14
	ds_write_b64 v9, v[7:8]
	s_waitcnt lgkmcnt(0)
	s_barrier
	s_and_saveexec_b64 s[2:3], vcc
	s_cbranch_execz .LBB20_27
; %bb.26:
	ds_read2_b64 v[10:13], v9 offset1:4
	s_waitcnt lgkmcnt(0)
	v_add_f32_e32 v7, v12, v10
	v_add_f32_e32 v8, v13, v11
	ds_write_b64 v9, v[7:8]
.LBB20_27:
	s_or_b64 exec, exec, s[2:3]
	v_cmp_gt_u32_e32 vcc, 2, v14
	s_waitcnt lgkmcnt(0)
	s_barrier
	s_and_saveexec_b64 s[2:3], vcc
	s_cbranch_execz .LBB20_29
; %bb.28:
	ds_read2_b64 v[10:13], v9 offset1:2
	s_waitcnt lgkmcnt(0)
	v_add_f32_e32 v7, v12, v10
	v_add_f32_e32 v8, v13, v11
	ds_write_b64 v9, v[7:8]
.LBB20_29:
	s_or_b64 exec, exec, s[2:3]
	v_cmp_eq_u32_e32 vcc, 0, v14
	s_waitcnt lgkmcnt(0)
	s_barrier
	s_and_saveexec_b64 s[2:3], vcc
	s_cbranch_execz .LBB20_31
; %bb.30:
	ds_read2_b64 v[10:13], v9 offset1:1
	s_waitcnt lgkmcnt(0)
	v_add_f32_e32 v7, v12, v10
	v_add_f32_e32 v8, v13, v11
	ds_write_b64 v9, v[7:8]
.LBB20_31:
	s_or_b64 exec, exec, s[2:3]
	s_waitcnt lgkmcnt(0)
	s_barrier
	s_and_b64 exec, exec, vcc
	s_cbranch_execz .LBB20_33
; %bb.32:
	v_lshlrev_b64 v[5:6], 3, v[5:6]
	v_mov_b32_e32 v7, s1
	v_add_co_u32_e32 v5, vcc, s0, v5
	v_addc_co_u32_e32 v6, vcc, v7, v6, vcc
	global_load_dwordx2 v[7:8], v[5:6], off
	ds_read_b64 v[9:10], v0
	s_waitcnt lgkmcnt(0)
	v_mul_f32_e64 v0, v10, -v2
	v_mul_f32_e32 v10, v10, v1
	v_fmac_f32_e32 v0, v1, v9
	v_fmac_f32_e32 v10, v2, v9
	s_waitcnt vmcnt(0)
	v_mul_f32_e64 v1, v4, -v8
	v_mul_f32_e32 v2, v4, v7
	v_fmac_f32_e32 v1, v7, v3
	v_fmac_f32_e32 v2, v8, v3
	v_add_f32_e32 v0, v0, v1
	v_add_f32_e32 v1, v10, v2
	global_store_dwordx2 v[5:6], v[0:1], off
.LBB20_33:
	s_endpgm
	.section	.rodata,"a",@progbits
	.p2align	6, 0x0
	.amdhsa_kernel _ZN9rocsparseL16sddmm_ell_kernelILi512ELi8E21rocsparse_complex_numIfEiiS2_S2_S2_EEv20rocsparse_operation_S3_16rocsparse_order_S4_T3_S5_S5_T2_NS_24const_host_device_scalarIT1_EEPKT4_lPKT5_lS9_PT6_PKS5_21rocsparse_index_base_b
		.amdhsa_group_segment_fixed_size 4096
		.amdhsa_private_segment_fixed_size 0
		.amdhsa_kernarg_size 104
		.amdhsa_user_sgpr_count 6
		.amdhsa_user_sgpr_private_segment_buffer 1
		.amdhsa_user_sgpr_dispatch_ptr 0
		.amdhsa_user_sgpr_queue_ptr 0
		.amdhsa_user_sgpr_kernarg_segment_ptr 1
		.amdhsa_user_sgpr_dispatch_id 0
		.amdhsa_user_sgpr_flat_scratch_init 0
		.amdhsa_user_sgpr_private_segment_size 0
		.amdhsa_uses_dynamic_stack 0
		.amdhsa_system_sgpr_private_segment_wavefront_offset 0
		.amdhsa_system_sgpr_workgroup_id_x 1
		.amdhsa_system_sgpr_workgroup_id_y 0
		.amdhsa_system_sgpr_workgroup_id_z 0
		.amdhsa_system_sgpr_workgroup_info 0
		.amdhsa_system_vgpr_workitem_id 0
		.amdhsa_next_free_vgpr 22
		.amdhsa_next_free_sgpr 22
		.amdhsa_reserve_vcc 1
		.amdhsa_reserve_flat_scratch 0
		.amdhsa_float_round_mode_32 0
		.amdhsa_float_round_mode_16_64 0
		.amdhsa_float_denorm_mode_32 3
		.amdhsa_float_denorm_mode_16_64 3
		.amdhsa_dx10_clamp 1
		.amdhsa_ieee_mode 1
		.amdhsa_fp16_overflow 0
		.amdhsa_exception_fp_ieee_invalid_op 0
		.amdhsa_exception_fp_denorm_src 0
		.amdhsa_exception_fp_ieee_div_zero 0
		.amdhsa_exception_fp_ieee_overflow 0
		.amdhsa_exception_fp_ieee_underflow 0
		.amdhsa_exception_fp_ieee_inexact 0
		.amdhsa_exception_int_div_zero 0
	.end_amdhsa_kernel
	.section	.text._ZN9rocsparseL16sddmm_ell_kernelILi512ELi8E21rocsparse_complex_numIfEiiS2_S2_S2_EEv20rocsparse_operation_S3_16rocsparse_order_S4_T3_S5_S5_T2_NS_24const_host_device_scalarIT1_EEPKT4_lPKT5_lS9_PT6_PKS5_21rocsparse_index_base_b,"axG",@progbits,_ZN9rocsparseL16sddmm_ell_kernelILi512ELi8E21rocsparse_complex_numIfEiiS2_S2_S2_EEv20rocsparse_operation_S3_16rocsparse_order_S4_T3_S5_S5_T2_NS_24const_host_device_scalarIT1_EEPKT4_lPKT5_lS9_PT6_PKS5_21rocsparse_index_base_b,comdat
.Lfunc_end20:
	.size	_ZN9rocsparseL16sddmm_ell_kernelILi512ELi8E21rocsparse_complex_numIfEiiS2_S2_S2_EEv20rocsparse_operation_S3_16rocsparse_order_S4_T3_S5_S5_T2_NS_24const_host_device_scalarIT1_EEPKT4_lPKT5_lS9_PT6_PKS5_21rocsparse_index_base_b, .Lfunc_end20-_ZN9rocsparseL16sddmm_ell_kernelILi512ELi8E21rocsparse_complex_numIfEiiS2_S2_S2_EEv20rocsparse_operation_S3_16rocsparse_order_S4_T3_S5_S5_T2_NS_24const_host_device_scalarIT1_EEPKT4_lPKT5_lS9_PT6_PKS5_21rocsparse_index_base_b
                                        ; -- End function
	.set _ZN9rocsparseL16sddmm_ell_kernelILi512ELi8E21rocsparse_complex_numIfEiiS2_S2_S2_EEv20rocsparse_operation_S3_16rocsparse_order_S4_T3_S5_S5_T2_NS_24const_host_device_scalarIT1_EEPKT4_lPKT5_lS9_PT6_PKS5_21rocsparse_index_base_b.num_vgpr, 22
	.set _ZN9rocsparseL16sddmm_ell_kernelILi512ELi8E21rocsparse_complex_numIfEiiS2_S2_S2_EEv20rocsparse_operation_S3_16rocsparse_order_S4_T3_S5_S5_T2_NS_24const_host_device_scalarIT1_EEPKT4_lPKT5_lS9_PT6_PKS5_21rocsparse_index_base_b.num_agpr, 0
	.set _ZN9rocsparseL16sddmm_ell_kernelILi512ELi8E21rocsparse_complex_numIfEiiS2_S2_S2_EEv20rocsparse_operation_S3_16rocsparse_order_S4_T3_S5_S5_T2_NS_24const_host_device_scalarIT1_EEPKT4_lPKT5_lS9_PT6_PKS5_21rocsparse_index_base_b.numbered_sgpr, 22
	.set _ZN9rocsparseL16sddmm_ell_kernelILi512ELi8E21rocsparse_complex_numIfEiiS2_S2_S2_EEv20rocsparse_operation_S3_16rocsparse_order_S4_T3_S5_S5_T2_NS_24const_host_device_scalarIT1_EEPKT4_lPKT5_lS9_PT6_PKS5_21rocsparse_index_base_b.num_named_barrier, 0
	.set _ZN9rocsparseL16sddmm_ell_kernelILi512ELi8E21rocsparse_complex_numIfEiiS2_S2_S2_EEv20rocsparse_operation_S3_16rocsparse_order_S4_T3_S5_S5_T2_NS_24const_host_device_scalarIT1_EEPKT4_lPKT5_lS9_PT6_PKS5_21rocsparse_index_base_b.private_seg_size, 0
	.set _ZN9rocsparseL16sddmm_ell_kernelILi512ELi8E21rocsparse_complex_numIfEiiS2_S2_S2_EEv20rocsparse_operation_S3_16rocsparse_order_S4_T3_S5_S5_T2_NS_24const_host_device_scalarIT1_EEPKT4_lPKT5_lS9_PT6_PKS5_21rocsparse_index_base_b.uses_vcc, 1
	.set _ZN9rocsparseL16sddmm_ell_kernelILi512ELi8E21rocsparse_complex_numIfEiiS2_S2_S2_EEv20rocsparse_operation_S3_16rocsparse_order_S4_T3_S5_S5_T2_NS_24const_host_device_scalarIT1_EEPKT4_lPKT5_lS9_PT6_PKS5_21rocsparse_index_base_b.uses_flat_scratch, 0
	.set _ZN9rocsparseL16sddmm_ell_kernelILi512ELi8E21rocsparse_complex_numIfEiiS2_S2_S2_EEv20rocsparse_operation_S3_16rocsparse_order_S4_T3_S5_S5_T2_NS_24const_host_device_scalarIT1_EEPKT4_lPKT5_lS9_PT6_PKS5_21rocsparse_index_base_b.has_dyn_sized_stack, 0
	.set _ZN9rocsparseL16sddmm_ell_kernelILi512ELi8E21rocsparse_complex_numIfEiiS2_S2_S2_EEv20rocsparse_operation_S3_16rocsparse_order_S4_T3_S5_S5_T2_NS_24const_host_device_scalarIT1_EEPKT4_lPKT5_lS9_PT6_PKS5_21rocsparse_index_base_b.has_recursion, 0
	.set _ZN9rocsparseL16sddmm_ell_kernelILi512ELi8E21rocsparse_complex_numIfEiiS2_S2_S2_EEv20rocsparse_operation_S3_16rocsparse_order_S4_T3_S5_S5_T2_NS_24const_host_device_scalarIT1_EEPKT4_lPKT5_lS9_PT6_PKS5_21rocsparse_index_base_b.has_indirect_call, 0
	.section	.AMDGPU.csdata,"",@progbits
; Kernel info:
; codeLenInByte = 1300
; TotalNumSgprs: 26
; NumVgprs: 22
; ScratchSize: 0
; MemoryBound: 0
; FloatMode: 240
; IeeeMode: 1
; LDSByteSize: 4096 bytes/workgroup (compile time only)
; SGPRBlocks: 3
; VGPRBlocks: 5
; NumSGPRsForWavesPerEU: 26
; NumVGPRsForWavesPerEU: 22
; Occupancy: 10
; WaveLimiterHint : 0
; COMPUTE_PGM_RSRC2:SCRATCH_EN: 0
; COMPUTE_PGM_RSRC2:USER_SGPR: 6
; COMPUTE_PGM_RSRC2:TRAP_HANDLER: 0
; COMPUTE_PGM_RSRC2:TGID_X_EN: 1
; COMPUTE_PGM_RSRC2:TGID_Y_EN: 0
; COMPUTE_PGM_RSRC2:TGID_Z_EN: 0
; COMPUTE_PGM_RSRC2:TIDIG_COMP_CNT: 0
	.section	.text._ZN9rocsparseL16sddmm_ell_kernelILi512ELi4E21rocsparse_complex_numIfEiiS2_S2_S2_EEv20rocsparse_operation_S3_16rocsparse_order_S4_T3_S5_S5_T2_NS_24const_host_device_scalarIT1_EEPKT4_lPKT5_lS9_PT6_PKS5_21rocsparse_index_base_b,"axG",@progbits,_ZN9rocsparseL16sddmm_ell_kernelILi512ELi4E21rocsparse_complex_numIfEiiS2_S2_S2_EEv20rocsparse_operation_S3_16rocsparse_order_S4_T3_S5_S5_T2_NS_24const_host_device_scalarIT1_EEPKT4_lPKT5_lS9_PT6_PKS5_21rocsparse_index_base_b,comdat
	.globl	_ZN9rocsparseL16sddmm_ell_kernelILi512ELi4E21rocsparse_complex_numIfEiiS2_S2_S2_EEv20rocsparse_operation_S3_16rocsparse_order_S4_T3_S5_S5_T2_NS_24const_host_device_scalarIT1_EEPKT4_lPKT5_lS9_PT6_PKS5_21rocsparse_index_base_b ; -- Begin function _ZN9rocsparseL16sddmm_ell_kernelILi512ELi4E21rocsparse_complex_numIfEiiS2_S2_S2_EEv20rocsparse_operation_S3_16rocsparse_order_S4_T3_S5_S5_T2_NS_24const_host_device_scalarIT1_EEPKT4_lPKT5_lS9_PT6_PKS5_21rocsparse_index_base_b
	.p2align	8
	.type	_ZN9rocsparseL16sddmm_ell_kernelILi512ELi4E21rocsparse_complex_numIfEiiS2_S2_S2_EEv20rocsparse_operation_S3_16rocsparse_order_S4_T3_S5_S5_T2_NS_24const_host_device_scalarIT1_EEPKT4_lPKT5_lS9_PT6_PKS5_21rocsparse_index_base_b,@function
_ZN9rocsparseL16sddmm_ell_kernelILi512ELi4E21rocsparse_complex_numIfEiiS2_S2_S2_EEv20rocsparse_operation_S3_16rocsparse_order_S4_T3_S5_S5_T2_NS_24const_host_device_scalarIT1_EEPKT4_lPKT5_lS9_PT6_PKS5_21rocsparse_index_base_b: ; @_ZN9rocsparseL16sddmm_ell_kernelILi512ELi4E21rocsparse_complex_numIfEiiS2_S2_S2_EEv20rocsparse_operation_S3_16rocsparse_order_S4_T3_S5_S5_T2_NS_24const_host_device_scalarIT1_EEPKT4_lPKT5_lS9_PT6_PKS5_21rocsparse_index_base_b
; %bb.0:
	s_load_dwordx2 s[0:1], s[4:5], 0x20
	s_load_dwordx4 s[8:11], s[4:5], 0x40
	s_load_dwordx2 s[2:3], s[4:5], 0x60
	s_add_u32 s7, s4, 32
	s_addc_u32 s12, s5, 0
	s_add_u32 s13, s4, 0x48
	s_addc_u32 s14, s5, 0
	s_waitcnt lgkmcnt(0)
	s_bitcmp1_b32 s3, 0
	s_cselect_b32 s1, s12, s1
	s_cselect_b32 s0, s7, s0
	v_mov_b32_e32 v1, s0
	v_mov_b32_e32 v2, s1
	flat_load_dwordx2 v[1:2], v[1:2]
	s_cselect_b32 s0, s14, s11
	s_cselect_b32 s1, s13, s10
	v_mov_b32_e32 v3, s1
	v_mov_b32_e32 v4, s0
	flat_load_dwordx2 v[3:4], v[3:4]
	s_mov_b64 s[0:1], -1
	s_waitcnt vmcnt(0) lgkmcnt(0)
	v_or_b32_e32 v5, v1, v2
	v_and_b32_e32 v5, 0x7fffffff, v5
	v_cmp_eq_u32_e32 vcc, 0, v5
	s_and_saveexec_b64 s[10:11], vcc
; %bb.1:
	v_cmp_neq_f32_e32 vcc, 1.0, v3
	v_cmp_neq_f32_e64 s[0:1], 0, v4
	s_or_b64 s[0:1], vcc, s[0:1]
	s_orn2_b64 s[0:1], s[0:1], exec
; %bb.2:
	s_or_b64 exec, exec, s[10:11]
	s_and_saveexec_b64 s[10:11], s[0:1]
	s_cbranch_execz .LBB21_31
; %bb.3:
	s_load_dwordx2 s[10:11], s[4:5], 0x18
	v_lshrrev_b32_e32 v13, 2, v0
	v_lshl_or_b32 v5, s6, 7, v13
	s_waitcnt lgkmcnt(0)
	v_cmp_gt_i32_e32 vcc, s11, v5
	s_and_b64 exec, exec, vcc
	s_cbranch_execz .LBB21_31
; %bb.4:
	s_load_dwordx2 s[0:1], s[4:5], 0x58
	v_ashrrev_i32_e32 v6, 31, v5
	v_lshlrev_b64 v[7:8], 2, v[5:6]
	s_waitcnt lgkmcnt(0)
	v_mov_b32_e32 v9, s1
	v_add_co_u32_e32 v7, vcc, s0, v7
	v_addc_co_u32_e32 v8, vcc, v9, v8, vcc
	global_load_dword v7, v[7:8], off
	s_waitcnt vmcnt(0)
	v_subrev_u32_e32 v7, s2, v7
	v_cmp_lt_i32_e32 vcc, -1, v7
	s_and_b64 exec, exec, vcc
	s_cbranch_execz .LBB21_31
; %bb.5:
	s_load_dwordx4 s[0:3], s[4:5], 0x0
	s_load_dword s11, s[4:5], 0x10
	v_sub_u32_e32 v10, 0, v5
	v_max_i32_e32 v10, v5, v10
	s_load_dwordx2 s[14:15], s[4:5], 0x30
	s_waitcnt lgkmcnt(0)
	s_cmp_eq_u32 s2, 1
	s_cselect_b64 s[6:7], -1, 0
	s_cmpk_eq_i32 s0, 0x6f
	s_cselect_b64 s[12:13], -1, 0
	s_cmpk_lg_i32 s0, 0x6f
	s_cselect_b64 s[16:17], -1, 0
	s_abs_i32 s0, s11
	v_cvt_f32_u32_e32 v8, s0
	s_sub_i32 s11, 0, s0
	s_cmp_lg_u32 s2, 1
	v_rcp_iflag_f32_e32 v8, v8
	v_mul_f32_e32 v8, 0x4f7ffffe, v8
	v_cvt_u32_f32_e32 v8, v8
	v_mul_lo_u32 v9, s11, v8
	v_mul_hi_u32 v9, v8, v9
	v_add_u32_e32 v8, v8, v9
	v_mul_hi_u32 v8, v10, v8
	v_mul_lo_u32 v8, v8, s0
	v_sub_u32_e32 v8, v10, v8
	v_subrev_u32_e32 v9, s0, v8
	v_cmp_le_u32_e32 vcc, s0, v8
	v_cndmask_b32_e32 v8, v8, v9, vcc
	v_subrev_u32_e32 v9, s0, v8
	v_cmp_le_u32_e32 vcc, s0, v8
	v_cndmask_b32_e32 v8, v8, v9, vcc
	v_xor_b32_e32 v8, v8, v6
	v_sub_u32_e32 v11, v8, v6
	v_ashrrev_i32_e32 v12, 31, v11
	s_cbranch_scc0 .LBB21_9
; %bb.6:
	v_mov_b32_e32 v9, v11
	s_andn2_b64 vcc, exec, s[12:13]
	v_mov_b32_e32 v10, v12
	s_cbranch_vccnz .LBB21_8
; %bb.7:
	v_mul_lo_u32 v8, s15, v11
	v_mul_lo_u32 v14, s14, v12
	v_mad_u64_u32 v[9:10], s[18:19], s14, v11, 0
	v_add3_u32 v10, v10, v14, v8
.LBB21_8:
	s_cbranch_execz .LBB21_10
	s_branch .LBB21_13
.LBB21_9:
                                        ; implicit-def: $vgpr9_vgpr10
.LBB21_10:
	s_andn2_b64 vcc, exec, s[16:17]
	s_cbranch_vccnz .LBB21_12
; %bb.11:
	v_mul_lo_u32 v8, s15, v11
	v_mul_lo_u32 v9, s14, v12
	v_mad_u64_u32 v[11:12], s[16:17], s14, v11, 0
	v_add3_u32 v12, v12, v9, v8
.LBB21_12:
	v_mov_b32_e32 v9, v11
	v_mov_b32_e32 v10, v12
.LBB21_13:
	s_cmp_eq_u32 s3, 1
	s_cselect_b64 s[16:17], -1, 0
	s_cmpk_eq_i32 s1, 0x6f
	s_cselect_b64 s[18:19], -1, 0
	s_cmpk_lg_i32 s1, 0x6f
	s_cselect_b64 s[0:1], -1, 0
	s_cmp_lg_u32 s3, 1
	v_mov_b32_e32 v8, 0
	s_cbranch_scc0 .LBB21_17
; %bb.14:
	v_mov_b32_e32 v12, v8
	s_andn2_b64 vcc, exec, s[0:1]
	v_mov_b32_e32 v11, v7
	s_cbranch_vccnz .LBB21_16
; %bb.15:
	v_mad_u64_u32 v[11:12], s[0:1], s8, v7, 0
	v_mad_u64_u32 v[14:15], s[0:1], s9, v7, v[12:13]
	v_mov_b32_e32 v12, v14
.LBB21_16:
	s_cbranch_execz .LBB21_18
	s_branch .LBB21_21
.LBB21_17:
                                        ; implicit-def: $vgpr11_vgpr12
.LBB21_18:
	s_andn2_b64 vcc, exec, s[18:19]
	s_cbranch_vccnz .LBB21_20
; %bb.19:
	v_mad_u64_u32 v[11:12], s[0:1], s8, v7, 0
	v_mov_b32_e32 v8, v12
	v_mad_u64_u32 v[7:8], s[0:1], s9, v7, v[8:9]
	v_mov_b32_e32 v12, v7
	v_mov_b32_e32 v7, v11
	;; [unrolled: 1-line block ×3, first 2 shown]
.LBB21_20:
	v_mov_b32_e32 v12, v8
	v_mov_b32_e32 v11, v7
.LBB21_21:
	s_load_dwordx2 s[0:1], s[4:5], 0x50
	v_and_b32_e32 v14, 3, v0
	v_cmp_gt_i32_e32 vcc, s10, v14
	v_mov_b32_e32 v8, 0
	v_mov_b32_e32 v7, 0
	s_and_saveexec_b64 s[2:3], vcc
	s_cbranch_execz .LBB21_25
; %bb.22:
	s_xor_b64 s[6:7], s[12:13], s[6:7]
	s_and_b64 s[6:7], s[6:7], exec
	s_cselect_b32 s6, 1, s14
	v_and_b32_e32 v17, 3, v0
	v_mad_u64_u32 v[7:8], s[12:13], s6, v17, 0
	s_cselect_b32 s7, 0, s15
	s_load_dwordx2 s[12:13], s[4:5], 0x28
	s_load_dwordx2 s[20:21], s[4:5], 0x38
	v_mov_b32_e32 v0, v8
	v_mad_u64_u32 v[15:16], s[14:15], s7, v17, v[0:1]
	s_xor_b64 s[4:5], s[18:19], s[16:17]
	s_and_b64 s[4:5], s[4:5], exec
	s_cselect_b32 s8, s8, 1
	v_mov_b32_e32 v8, v15
	v_mad_u64_u32 v[15:16], s[4:5], s8, v17, 0
	v_lshlrev_b64 v[7:8], 3, v[7:8]
	v_lshlrev_b64 v[9:10], 3, v[9:10]
	s_cselect_b32 s9, s9, 0
	v_add_co_u32_e32 v9, vcc, v7, v9
	v_mov_b32_e32 v0, v16
	v_addc_co_u32_e32 v10, vcc, v8, v10, vcc
	v_mad_u64_u32 v[7:8], s[4:5], s9, v17, v[0:1]
	s_waitcnt lgkmcnt(0)
	v_mov_b32_e32 v18, s13
	v_add_co_u32_e32 v9, vcc, s12, v9
	v_mov_b32_e32 v16, v7
	v_lshlrev_b64 v[7:8], 3, v[15:16]
	v_lshlrev_b64 v[11:12], 3, v[11:12]
	v_addc_co_u32_e32 v10, vcc, v18, v10, vcc
	v_add_co_u32_e32 v0, vcc, v7, v11
	v_addc_co_u32_e32 v7, vcc, v8, v12, vcc
	v_mov_b32_e32 v8, s21
	v_add_co_u32_e32 v0, vcc, s20, v0
	v_addc_co_u32_e32 v7, vcc, v8, v7, vcc
	s_lshl_b64 s[4:5], s[6:7], 5
	v_add_co_u32_e32 v11, vcc, 4, v0
	s_lshl_b64 s[6:7], s[8:9], 5
	v_mov_b32_e32 v8, 0
	v_addc_co_u32_e32 v12, vcc, 0, v7, vcc
	s_mov_b64 s[8:9], 0
	v_mov_b32_e32 v0, s5
	v_mov_b32_e32 v15, s7
	;; [unrolled: 1-line block ×4, first 2 shown]
.LBB21_23:                              ; =>This Inner Loop Header: Depth=1
	global_load_dwordx2 v[17:18], v[9:10], off
	global_load_dwordx2 v[19:20], v[11:12], off offset:-4
	v_add_co_u32_e32 v9, vcc, s4, v9
	v_addc_co_u32_e32 v10, vcc, v10, v0, vcc
	v_add_co_u32_e32 v11, vcc, s6, v11
	v_add_u32_e32 v16, 4, v16
	v_addc_co_u32_e32 v12, vcc, v12, v15, vcc
	v_cmp_le_i32_e32 vcc, s10, v16
	s_or_b64 s[8:9], vcc, s[8:9]
	s_waitcnt vmcnt(0)
	v_mul_f32_e64 v21, v20, -v18
	v_mul_f32_e32 v20, v20, v17
	v_fmac_f32_e32 v21, v17, v19
	v_fmac_f32_e32 v20, v18, v19
	v_add_f32_e32 v7, v7, v21
	v_add_f32_e32 v8, v8, v20
	s_andn2_b64 exec, exec, s[8:9]
	s_cbranch_execnz .LBB21_23
; %bb.24:
	s_or_b64 exec, exec, s[8:9]
.LBB21_25:
	s_or_b64 exec, exec, s[2:3]
	v_lshlrev_b32_e32 v0, 5, v13
	v_lshl_or_b32 v9, v14, 3, v0
	v_cmp_gt_u32_e32 vcc, 2, v14
	ds_write_b64 v9, v[7:8]
	s_waitcnt lgkmcnt(0)
	s_barrier
	s_and_saveexec_b64 s[2:3], vcc
	s_cbranch_execz .LBB21_27
; %bb.26:
	ds_read2_b64 v[10:13], v9 offset1:2
	s_waitcnt lgkmcnt(0)
	v_add_f32_e32 v7, v12, v10
	v_add_f32_e32 v8, v13, v11
	ds_write_b64 v9, v[7:8]
.LBB21_27:
	s_or_b64 exec, exec, s[2:3]
	v_cmp_eq_u32_e32 vcc, 0, v14
	s_waitcnt lgkmcnt(0)
	s_barrier
	s_and_saveexec_b64 s[2:3], vcc
	s_cbranch_execz .LBB21_29
; %bb.28:
	ds_read2_b64 v[10:13], v9 offset1:1
	s_waitcnt lgkmcnt(0)
	v_add_f32_e32 v7, v12, v10
	v_add_f32_e32 v8, v13, v11
	ds_write_b64 v9, v[7:8]
.LBB21_29:
	s_or_b64 exec, exec, s[2:3]
	s_waitcnt lgkmcnt(0)
	s_barrier
	s_and_b64 exec, exec, vcc
	s_cbranch_execz .LBB21_31
; %bb.30:
	v_lshlrev_b64 v[5:6], 3, v[5:6]
	v_mov_b32_e32 v7, s1
	v_add_co_u32_e32 v5, vcc, s0, v5
	v_addc_co_u32_e32 v6, vcc, v7, v6, vcc
	global_load_dwordx2 v[7:8], v[5:6], off
	ds_read_b64 v[9:10], v0
	s_waitcnt lgkmcnt(0)
	v_mul_f32_e64 v0, v10, -v2
	v_mul_f32_e32 v10, v10, v1
	v_fmac_f32_e32 v0, v1, v9
	v_fmac_f32_e32 v10, v2, v9
	s_waitcnt vmcnt(0)
	v_mul_f32_e64 v1, v4, -v8
	v_mul_f32_e32 v2, v4, v7
	v_fmac_f32_e32 v1, v7, v3
	v_fmac_f32_e32 v2, v8, v3
	v_add_f32_e32 v0, v0, v1
	v_add_f32_e32 v1, v10, v2
	global_store_dwordx2 v[5:6], v[0:1], off
.LBB21_31:
	s_endpgm
	.section	.rodata,"a",@progbits
	.p2align	6, 0x0
	.amdhsa_kernel _ZN9rocsparseL16sddmm_ell_kernelILi512ELi4E21rocsparse_complex_numIfEiiS2_S2_S2_EEv20rocsparse_operation_S3_16rocsparse_order_S4_T3_S5_S5_T2_NS_24const_host_device_scalarIT1_EEPKT4_lPKT5_lS9_PT6_PKS5_21rocsparse_index_base_b
		.amdhsa_group_segment_fixed_size 4096
		.amdhsa_private_segment_fixed_size 0
		.amdhsa_kernarg_size 104
		.amdhsa_user_sgpr_count 6
		.amdhsa_user_sgpr_private_segment_buffer 1
		.amdhsa_user_sgpr_dispatch_ptr 0
		.amdhsa_user_sgpr_queue_ptr 0
		.amdhsa_user_sgpr_kernarg_segment_ptr 1
		.amdhsa_user_sgpr_dispatch_id 0
		.amdhsa_user_sgpr_flat_scratch_init 0
		.amdhsa_user_sgpr_private_segment_size 0
		.amdhsa_uses_dynamic_stack 0
		.amdhsa_system_sgpr_private_segment_wavefront_offset 0
		.amdhsa_system_sgpr_workgroup_id_x 1
		.amdhsa_system_sgpr_workgroup_id_y 0
		.amdhsa_system_sgpr_workgroup_id_z 0
		.amdhsa_system_sgpr_workgroup_info 0
		.amdhsa_system_vgpr_workitem_id 0
		.amdhsa_next_free_vgpr 22
		.amdhsa_next_free_sgpr 22
		.amdhsa_reserve_vcc 1
		.amdhsa_reserve_flat_scratch 0
		.amdhsa_float_round_mode_32 0
		.amdhsa_float_round_mode_16_64 0
		.amdhsa_float_denorm_mode_32 3
		.amdhsa_float_denorm_mode_16_64 3
		.amdhsa_dx10_clamp 1
		.amdhsa_ieee_mode 1
		.amdhsa_fp16_overflow 0
		.amdhsa_exception_fp_ieee_invalid_op 0
		.amdhsa_exception_fp_denorm_src 0
		.amdhsa_exception_fp_ieee_div_zero 0
		.amdhsa_exception_fp_ieee_overflow 0
		.amdhsa_exception_fp_ieee_underflow 0
		.amdhsa_exception_fp_ieee_inexact 0
		.amdhsa_exception_int_div_zero 0
	.end_amdhsa_kernel
	.section	.text._ZN9rocsparseL16sddmm_ell_kernelILi512ELi4E21rocsparse_complex_numIfEiiS2_S2_S2_EEv20rocsparse_operation_S3_16rocsparse_order_S4_T3_S5_S5_T2_NS_24const_host_device_scalarIT1_EEPKT4_lPKT5_lS9_PT6_PKS5_21rocsparse_index_base_b,"axG",@progbits,_ZN9rocsparseL16sddmm_ell_kernelILi512ELi4E21rocsparse_complex_numIfEiiS2_S2_S2_EEv20rocsparse_operation_S3_16rocsparse_order_S4_T3_S5_S5_T2_NS_24const_host_device_scalarIT1_EEPKT4_lPKT5_lS9_PT6_PKS5_21rocsparse_index_base_b,comdat
.Lfunc_end21:
	.size	_ZN9rocsparseL16sddmm_ell_kernelILi512ELi4E21rocsparse_complex_numIfEiiS2_S2_S2_EEv20rocsparse_operation_S3_16rocsparse_order_S4_T3_S5_S5_T2_NS_24const_host_device_scalarIT1_EEPKT4_lPKT5_lS9_PT6_PKS5_21rocsparse_index_base_b, .Lfunc_end21-_ZN9rocsparseL16sddmm_ell_kernelILi512ELi4E21rocsparse_complex_numIfEiiS2_S2_S2_EEv20rocsparse_operation_S3_16rocsparse_order_S4_T3_S5_S5_T2_NS_24const_host_device_scalarIT1_EEPKT4_lPKT5_lS9_PT6_PKS5_21rocsparse_index_base_b
                                        ; -- End function
	.set _ZN9rocsparseL16sddmm_ell_kernelILi512ELi4E21rocsparse_complex_numIfEiiS2_S2_S2_EEv20rocsparse_operation_S3_16rocsparse_order_S4_T3_S5_S5_T2_NS_24const_host_device_scalarIT1_EEPKT4_lPKT5_lS9_PT6_PKS5_21rocsparse_index_base_b.num_vgpr, 22
	.set _ZN9rocsparseL16sddmm_ell_kernelILi512ELi4E21rocsparse_complex_numIfEiiS2_S2_S2_EEv20rocsparse_operation_S3_16rocsparse_order_S4_T3_S5_S5_T2_NS_24const_host_device_scalarIT1_EEPKT4_lPKT5_lS9_PT6_PKS5_21rocsparse_index_base_b.num_agpr, 0
	.set _ZN9rocsparseL16sddmm_ell_kernelILi512ELi4E21rocsparse_complex_numIfEiiS2_S2_S2_EEv20rocsparse_operation_S3_16rocsparse_order_S4_T3_S5_S5_T2_NS_24const_host_device_scalarIT1_EEPKT4_lPKT5_lS9_PT6_PKS5_21rocsparse_index_base_b.numbered_sgpr, 22
	.set _ZN9rocsparseL16sddmm_ell_kernelILi512ELi4E21rocsparse_complex_numIfEiiS2_S2_S2_EEv20rocsparse_operation_S3_16rocsparse_order_S4_T3_S5_S5_T2_NS_24const_host_device_scalarIT1_EEPKT4_lPKT5_lS9_PT6_PKS5_21rocsparse_index_base_b.num_named_barrier, 0
	.set _ZN9rocsparseL16sddmm_ell_kernelILi512ELi4E21rocsparse_complex_numIfEiiS2_S2_S2_EEv20rocsparse_operation_S3_16rocsparse_order_S4_T3_S5_S5_T2_NS_24const_host_device_scalarIT1_EEPKT4_lPKT5_lS9_PT6_PKS5_21rocsparse_index_base_b.private_seg_size, 0
	.set _ZN9rocsparseL16sddmm_ell_kernelILi512ELi4E21rocsparse_complex_numIfEiiS2_S2_S2_EEv20rocsparse_operation_S3_16rocsparse_order_S4_T3_S5_S5_T2_NS_24const_host_device_scalarIT1_EEPKT4_lPKT5_lS9_PT6_PKS5_21rocsparse_index_base_b.uses_vcc, 1
	.set _ZN9rocsparseL16sddmm_ell_kernelILi512ELi4E21rocsparse_complex_numIfEiiS2_S2_S2_EEv20rocsparse_operation_S3_16rocsparse_order_S4_T3_S5_S5_T2_NS_24const_host_device_scalarIT1_EEPKT4_lPKT5_lS9_PT6_PKS5_21rocsparse_index_base_b.uses_flat_scratch, 0
	.set _ZN9rocsparseL16sddmm_ell_kernelILi512ELi4E21rocsparse_complex_numIfEiiS2_S2_S2_EEv20rocsparse_operation_S3_16rocsparse_order_S4_T3_S5_S5_T2_NS_24const_host_device_scalarIT1_EEPKT4_lPKT5_lS9_PT6_PKS5_21rocsparse_index_base_b.has_dyn_sized_stack, 0
	.set _ZN9rocsparseL16sddmm_ell_kernelILi512ELi4E21rocsparse_complex_numIfEiiS2_S2_S2_EEv20rocsparse_operation_S3_16rocsparse_order_S4_T3_S5_S5_T2_NS_24const_host_device_scalarIT1_EEPKT4_lPKT5_lS9_PT6_PKS5_21rocsparse_index_base_b.has_recursion, 0
	.set _ZN9rocsparseL16sddmm_ell_kernelILi512ELi4E21rocsparse_complex_numIfEiiS2_S2_S2_EEv20rocsparse_operation_S3_16rocsparse_order_S4_T3_S5_S5_T2_NS_24const_host_device_scalarIT1_EEPKT4_lPKT5_lS9_PT6_PKS5_21rocsparse_index_base_b.has_indirect_call, 0
	.section	.AMDGPU.csdata,"",@progbits
; Kernel info:
; codeLenInByte = 1248
; TotalNumSgprs: 26
; NumVgprs: 22
; ScratchSize: 0
; MemoryBound: 0
; FloatMode: 240
; IeeeMode: 1
; LDSByteSize: 4096 bytes/workgroup (compile time only)
; SGPRBlocks: 3
; VGPRBlocks: 5
; NumSGPRsForWavesPerEU: 26
; NumVGPRsForWavesPerEU: 22
; Occupancy: 10
; WaveLimiterHint : 0
; COMPUTE_PGM_RSRC2:SCRATCH_EN: 0
; COMPUTE_PGM_RSRC2:USER_SGPR: 6
; COMPUTE_PGM_RSRC2:TRAP_HANDLER: 0
; COMPUTE_PGM_RSRC2:TGID_X_EN: 1
; COMPUTE_PGM_RSRC2:TGID_Y_EN: 0
; COMPUTE_PGM_RSRC2:TGID_Z_EN: 0
; COMPUTE_PGM_RSRC2:TIDIG_COMP_CNT: 0
	.section	.text._ZN9rocsparseL16sddmm_ell_kernelILi512ELi2E21rocsparse_complex_numIfEiiS2_S2_S2_EEv20rocsparse_operation_S3_16rocsparse_order_S4_T3_S5_S5_T2_NS_24const_host_device_scalarIT1_EEPKT4_lPKT5_lS9_PT6_PKS5_21rocsparse_index_base_b,"axG",@progbits,_ZN9rocsparseL16sddmm_ell_kernelILi512ELi2E21rocsparse_complex_numIfEiiS2_S2_S2_EEv20rocsparse_operation_S3_16rocsparse_order_S4_T3_S5_S5_T2_NS_24const_host_device_scalarIT1_EEPKT4_lPKT5_lS9_PT6_PKS5_21rocsparse_index_base_b,comdat
	.globl	_ZN9rocsparseL16sddmm_ell_kernelILi512ELi2E21rocsparse_complex_numIfEiiS2_S2_S2_EEv20rocsparse_operation_S3_16rocsparse_order_S4_T3_S5_S5_T2_NS_24const_host_device_scalarIT1_EEPKT4_lPKT5_lS9_PT6_PKS5_21rocsparse_index_base_b ; -- Begin function _ZN9rocsparseL16sddmm_ell_kernelILi512ELi2E21rocsparse_complex_numIfEiiS2_S2_S2_EEv20rocsparse_operation_S3_16rocsparse_order_S4_T3_S5_S5_T2_NS_24const_host_device_scalarIT1_EEPKT4_lPKT5_lS9_PT6_PKS5_21rocsparse_index_base_b
	.p2align	8
	.type	_ZN9rocsparseL16sddmm_ell_kernelILi512ELi2E21rocsparse_complex_numIfEiiS2_S2_S2_EEv20rocsparse_operation_S3_16rocsparse_order_S4_T3_S5_S5_T2_NS_24const_host_device_scalarIT1_EEPKT4_lPKT5_lS9_PT6_PKS5_21rocsparse_index_base_b,@function
_ZN9rocsparseL16sddmm_ell_kernelILi512ELi2E21rocsparse_complex_numIfEiiS2_S2_S2_EEv20rocsparse_operation_S3_16rocsparse_order_S4_T3_S5_S5_T2_NS_24const_host_device_scalarIT1_EEPKT4_lPKT5_lS9_PT6_PKS5_21rocsparse_index_base_b: ; @_ZN9rocsparseL16sddmm_ell_kernelILi512ELi2E21rocsparse_complex_numIfEiiS2_S2_S2_EEv20rocsparse_operation_S3_16rocsparse_order_S4_T3_S5_S5_T2_NS_24const_host_device_scalarIT1_EEPKT4_lPKT5_lS9_PT6_PKS5_21rocsparse_index_base_b
; %bb.0:
	s_load_dwordx2 s[0:1], s[4:5], 0x20
	s_load_dwordx4 s[8:11], s[4:5], 0x40
	s_load_dwordx2 s[2:3], s[4:5], 0x60
	s_add_u32 s7, s4, 32
	s_addc_u32 s12, s5, 0
	s_add_u32 s13, s4, 0x48
	s_addc_u32 s14, s5, 0
	s_waitcnt lgkmcnt(0)
	s_bitcmp1_b32 s3, 0
	s_cselect_b32 s1, s12, s1
	s_cselect_b32 s0, s7, s0
	v_mov_b32_e32 v1, s0
	v_mov_b32_e32 v2, s1
	flat_load_dwordx2 v[1:2], v[1:2]
	s_cselect_b32 s0, s14, s11
	s_cselect_b32 s1, s13, s10
	v_mov_b32_e32 v3, s1
	v_mov_b32_e32 v4, s0
	flat_load_dwordx2 v[3:4], v[3:4]
	s_mov_b64 s[0:1], -1
	s_waitcnt vmcnt(0) lgkmcnt(0)
	v_or_b32_e32 v5, v1, v2
	v_and_b32_e32 v5, 0x7fffffff, v5
	v_cmp_eq_u32_e32 vcc, 0, v5
	s_and_saveexec_b64 s[10:11], vcc
; %bb.1:
	v_cmp_neq_f32_e32 vcc, 1.0, v3
	v_cmp_neq_f32_e64 s[0:1], 0, v4
	s_or_b64 s[0:1], vcc, s[0:1]
	s_orn2_b64 s[0:1], s[0:1], exec
; %bb.2:
	s_or_b64 exec, exec, s[10:11]
	s_and_saveexec_b64 s[10:11], s[0:1]
	s_cbranch_execz .LBB22_29
; %bb.3:
	s_load_dwordx2 s[10:11], s[4:5], 0x18
	v_lshrrev_b32_e32 v13, 1, v0
	v_lshl_or_b32 v5, s6, 8, v13
	s_waitcnt lgkmcnt(0)
	v_cmp_gt_i32_e32 vcc, s11, v5
	s_and_b64 exec, exec, vcc
	s_cbranch_execz .LBB22_29
; %bb.4:
	s_load_dwordx2 s[0:1], s[4:5], 0x58
	v_ashrrev_i32_e32 v6, 31, v5
	v_lshlrev_b64 v[7:8], 2, v[5:6]
	s_waitcnt lgkmcnt(0)
	v_mov_b32_e32 v9, s1
	v_add_co_u32_e32 v7, vcc, s0, v7
	v_addc_co_u32_e32 v8, vcc, v9, v8, vcc
	global_load_dword v7, v[7:8], off
	s_waitcnt vmcnt(0)
	v_subrev_u32_e32 v7, s2, v7
	v_cmp_lt_i32_e32 vcc, -1, v7
	s_and_b64 exec, exec, vcc
	s_cbranch_execz .LBB22_29
; %bb.5:
	s_load_dwordx4 s[0:3], s[4:5], 0x0
	s_load_dword s11, s[4:5], 0x10
	v_sub_u32_e32 v10, 0, v5
	v_max_i32_e32 v10, v5, v10
	s_load_dwordx2 s[14:15], s[4:5], 0x30
	s_waitcnt lgkmcnt(0)
	s_cmp_eq_u32 s2, 1
	s_cselect_b64 s[6:7], -1, 0
	s_cmpk_eq_i32 s0, 0x6f
	s_cselect_b64 s[12:13], -1, 0
	s_cmpk_lg_i32 s0, 0x6f
	s_cselect_b64 s[16:17], -1, 0
	s_abs_i32 s0, s11
	v_cvt_f32_u32_e32 v8, s0
	s_sub_i32 s11, 0, s0
	s_cmp_lg_u32 s2, 1
	v_rcp_iflag_f32_e32 v8, v8
	v_mul_f32_e32 v8, 0x4f7ffffe, v8
	v_cvt_u32_f32_e32 v8, v8
	v_mul_lo_u32 v9, s11, v8
	v_mul_hi_u32 v9, v8, v9
	v_add_u32_e32 v8, v8, v9
	v_mul_hi_u32 v8, v10, v8
	v_mul_lo_u32 v8, v8, s0
	v_sub_u32_e32 v8, v10, v8
	v_subrev_u32_e32 v9, s0, v8
	v_cmp_le_u32_e32 vcc, s0, v8
	v_cndmask_b32_e32 v8, v8, v9, vcc
	v_subrev_u32_e32 v9, s0, v8
	v_cmp_le_u32_e32 vcc, s0, v8
	v_cndmask_b32_e32 v8, v8, v9, vcc
	v_xor_b32_e32 v8, v8, v6
	v_sub_u32_e32 v11, v8, v6
	v_ashrrev_i32_e32 v12, 31, v11
	s_cbranch_scc0 .LBB22_9
; %bb.6:
	v_mov_b32_e32 v9, v11
	s_andn2_b64 vcc, exec, s[12:13]
	v_mov_b32_e32 v10, v12
	s_cbranch_vccnz .LBB22_8
; %bb.7:
	v_mul_lo_u32 v8, s15, v11
	v_mul_lo_u32 v14, s14, v12
	v_mad_u64_u32 v[9:10], s[18:19], s14, v11, 0
	v_add3_u32 v10, v10, v14, v8
.LBB22_8:
	s_cbranch_execz .LBB22_10
	s_branch .LBB22_13
.LBB22_9:
                                        ; implicit-def: $vgpr9_vgpr10
.LBB22_10:
	s_andn2_b64 vcc, exec, s[16:17]
	s_cbranch_vccnz .LBB22_12
; %bb.11:
	v_mul_lo_u32 v8, s15, v11
	v_mul_lo_u32 v9, s14, v12
	v_mad_u64_u32 v[11:12], s[16:17], s14, v11, 0
	v_add3_u32 v12, v12, v9, v8
.LBB22_12:
	v_mov_b32_e32 v9, v11
	v_mov_b32_e32 v10, v12
.LBB22_13:
	s_cmp_eq_u32 s3, 1
	s_cselect_b64 s[16:17], -1, 0
	s_cmpk_eq_i32 s1, 0x6f
	s_cselect_b64 s[18:19], -1, 0
	s_cmpk_lg_i32 s1, 0x6f
	s_cselect_b64 s[0:1], -1, 0
	s_cmp_lg_u32 s3, 1
	v_mov_b32_e32 v8, 0
	s_cbranch_scc0 .LBB22_17
; %bb.14:
	v_mov_b32_e32 v12, v8
	s_andn2_b64 vcc, exec, s[0:1]
	v_mov_b32_e32 v11, v7
	s_cbranch_vccnz .LBB22_16
; %bb.15:
	v_mad_u64_u32 v[11:12], s[0:1], s8, v7, 0
	v_mad_u64_u32 v[14:15], s[0:1], s9, v7, v[12:13]
	v_mov_b32_e32 v12, v14
.LBB22_16:
	s_cbranch_execz .LBB22_18
	s_branch .LBB22_21
.LBB22_17:
                                        ; implicit-def: $vgpr11_vgpr12
.LBB22_18:
	s_andn2_b64 vcc, exec, s[18:19]
	s_cbranch_vccnz .LBB22_20
; %bb.19:
	v_mad_u64_u32 v[11:12], s[0:1], s8, v7, 0
	v_mov_b32_e32 v8, v12
	v_mad_u64_u32 v[7:8], s[0:1], s9, v7, v[8:9]
	v_mov_b32_e32 v12, v7
	v_mov_b32_e32 v7, v11
	;; [unrolled: 1-line block ×3, first 2 shown]
.LBB22_20:
	v_mov_b32_e32 v12, v8
	v_mov_b32_e32 v11, v7
.LBB22_21:
	s_load_dwordx2 s[0:1], s[4:5], 0x50
	v_and_b32_e32 v14, 1, v0
	v_cmp_gt_i32_e32 vcc, s10, v14
	v_mov_b32_e32 v8, 0
	v_mov_b32_e32 v7, 0
	s_and_saveexec_b64 s[2:3], vcc
	s_cbranch_execz .LBB22_25
; %bb.22:
	s_load_dwordx2 s[20:21], s[4:5], 0x28
	s_load_dwordx2 s[22:23], s[4:5], 0x38
	s_xor_b64 s[4:5], s[12:13], s[6:7]
	s_and_b64 s[4:5], s[4:5], exec
	s_cselect_b32 s5, 0, s15
	s_cselect_b32 s4, 1, s14
	v_and_b32_e32 v0, 1, v0
	v_mul_lo_u32 v8, s5, v0
	v_mul_lo_u32 v7, s4, v0
	s_xor_b64 s[6:7], s[18:19], s[16:17]
	v_lshlrev_b64 v[9:10], 3, v[9:10]
	s_and_b64 s[6:7], s[6:7], exec
	v_lshlrev_b64 v[7:8], 3, v[7:8]
	s_cselect_b32 s7, s9, 0
	s_cselect_b32 s6, s8, 1
	v_add_co_u32_e32 v9, vcc, v7, v9
	v_addc_co_u32_e32 v10, vcc, v8, v10, vcc
	v_mul_lo_u32 v8, s7, v0
	v_mul_lo_u32 v7, s6, v0
	s_waitcnt lgkmcnt(0)
	v_mov_b32_e32 v15, s21
	v_add_co_u32_e32 v9, vcc, s20, v9
	v_lshlrev_b64 v[7:8], 3, v[7:8]
	v_lshlrev_b64 v[11:12], 3, v[11:12]
	v_addc_co_u32_e32 v10, vcc, v15, v10, vcc
	v_add_co_u32_e32 v0, vcc, v7, v11
	v_addc_co_u32_e32 v7, vcc, v8, v12, vcc
	v_mov_b32_e32 v8, s23
	v_add_co_u32_e32 v0, vcc, s22, v0
	v_addc_co_u32_e32 v7, vcc, v8, v7, vcc
	s_lshl_b64 s[4:5], s[4:5], 4
	v_add_co_u32_e32 v11, vcc, 4, v0
	s_lshl_b64 s[6:7], s[6:7], 4
	v_mov_b32_e32 v8, 0
	v_addc_co_u32_e32 v12, vcc, 0, v7, vcc
	s_mov_b64 s[8:9], 0
	v_mov_b32_e32 v0, s5
	v_mov_b32_e32 v15, s7
	;; [unrolled: 1-line block ×4, first 2 shown]
.LBB22_23:                              ; =>This Inner Loop Header: Depth=1
	global_load_dwordx2 v[17:18], v[9:10], off
	global_load_dwordx2 v[19:20], v[11:12], off offset:-4
	v_add_co_u32_e32 v9, vcc, s4, v9
	v_addc_co_u32_e32 v10, vcc, v10, v0, vcc
	v_add_co_u32_e32 v11, vcc, s6, v11
	v_add_u32_e32 v16, 2, v16
	v_addc_co_u32_e32 v12, vcc, v12, v15, vcc
	v_cmp_le_i32_e32 vcc, s10, v16
	s_or_b64 s[8:9], vcc, s[8:9]
	s_waitcnt vmcnt(0)
	v_mul_f32_e64 v21, v20, -v18
	v_mul_f32_e32 v20, v20, v17
	v_fmac_f32_e32 v21, v17, v19
	v_fmac_f32_e32 v20, v18, v19
	v_add_f32_e32 v7, v7, v21
	v_add_f32_e32 v8, v8, v20
	s_andn2_b64 exec, exec, s[8:9]
	s_cbranch_execnz .LBB22_23
; %bb.24:
	s_or_b64 exec, exec, s[8:9]
.LBB22_25:
	s_or_b64 exec, exec, s[2:3]
	v_lshlrev_b32_e32 v0, 4, v13
	v_lshl_or_b32 v9, v14, 3, v0
	v_cmp_eq_u32_e32 vcc, 0, v14
	ds_write_b64 v9, v[7:8]
	s_waitcnt lgkmcnt(0)
	s_barrier
	s_and_saveexec_b64 s[2:3], vcc
	s_cbranch_execz .LBB22_27
; %bb.26:
	ds_read_b64 v[7:8], v0 offset:8
	ds_read_b64 v[10:11], v9
	s_waitcnt lgkmcnt(0)
	v_add_f32_e32 v7, v7, v10
	v_add_f32_e32 v8, v8, v11
	ds_write_b64 v9, v[7:8]
.LBB22_27:
	s_or_b64 exec, exec, s[2:3]
	s_waitcnt lgkmcnt(0)
	s_barrier
	s_and_b64 exec, exec, vcc
	s_cbranch_execz .LBB22_29
; %bb.28:
	v_lshlrev_b64 v[5:6], 3, v[5:6]
	v_mov_b32_e32 v7, s1
	v_add_co_u32_e32 v5, vcc, s0, v5
	v_addc_co_u32_e32 v6, vcc, v7, v6, vcc
	global_load_dwordx2 v[7:8], v[5:6], off
	ds_read_b64 v[9:10], v0
	s_waitcnt lgkmcnt(0)
	v_mul_f32_e64 v0, v10, -v2
	v_mul_f32_e32 v10, v10, v1
	v_fmac_f32_e32 v0, v1, v9
	v_fmac_f32_e32 v10, v2, v9
	s_waitcnt vmcnt(0)
	v_mul_f32_e64 v1, v4, -v8
	v_mul_f32_e32 v2, v4, v7
	v_fmac_f32_e32 v1, v7, v3
	v_fmac_f32_e32 v2, v8, v3
	v_add_f32_e32 v0, v0, v1
	v_add_f32_e32 v1, v10, v2
	global_store_dwordx2 v[5:6], v[0:1], off
.LBB22_29:
	s_endpgm
	.section	.rodata,"a",@progbits
	.p2align	6, 0x0
	.amdhsa_kernel _ZN9rocsparseL16sddmm_ell_kernelILi512ELi2E21rocsparse_complex_numIfEiiS2_S2_S2_EEv20rocsparse_operation_S3_16rocsparse_order_S4_T3_S5_S5_T2_NS_24const_host_device_scalarIT1_EEPKT4_lPKT5_lS9_PT6_PKS5_21rocsparse_index_base_b
		.amdhsa_group_segment_fixed_size 4096
		.amdhsa_private_segment_fixed_size 0
		.amdhsa_kernarg_size 104
		.amdhsa_user_sgpr_count 6
		.amdhsa_user_sgpr_private_segment_buffer 1
		.amdhsa_user_sgpr_dispatch_ptr 0
		.amdhsa_user_sgpr_queue_ptr 0
		.amdhsa_user_sgpr_kernarg_segment_ptr 1
		.amdhsa_user_sgpr_dispatch_id 0
		.amdhsa_user_sgpr_flat_scratch_init 0
		.amdhsa_user_sgpr_private_segment_size 0
		.amdhsa_uses_dynamic_stack 0
		.amdhsa_system_sgpr_private_segment_wavefront_offset 0
		.amdhsa_system_sgpr_workgroup_id_x 1
		.amdhsa_system_sgpr_workgroup_id_y 0
		.amdhsa_system_sgpr_workgroup_id_z 0
		.amdhsa_system_sgpr_workgroup_info 0
		.amdhsa_system_vgpr_workitem_id 0
		.amdhsa_next_free_vgpr 22
		.amdhsa_next_free_sgpr 24
		.amdhsa_reserve_vcc 1
		.amdhsa_reserve_flat_scratch 0
		.amdhsa_float_round_mode_32 0
		.amdhsa_float_round_mode_16_64 0
		.amdhsa_float_denorm_mode_32 3
		.amdhsa_float_denorm_mode_16_64 3
		.amdhsa_dx10_clamp 1
		.amdhsa_ieee_mode 1
		.amdhsa_fp16_overflow 0
		.amdhsa_exception_fp_ieee_invalid_op 0
		.amdhsa_exception_fp_denorm_src 0
		.amdhsa_exception_fp_ieee_div_zero 0
		.amdhsa_exception_fp_ieee_overflow 0
		.amdhsa_exception_fp_ieee_underflow 0
		.amdhsa_exception_fp_ieee_inexact 0
		.amdhsa_exception_int_div_zero 0
	.end_amdhsa_kernel
	.section	.text._ZN9rocsparseL16sddmm_ell_kernelILi512ELi2E21rocsparse_complex_numIfEiiS2_S2_S2_EEv20rocsparse_operation_S3_16rocsparse_order_S4_T3_S5_S5_T2_NS_24const_host_device_scalarIT1_EEPKT4_lPKT5_lS9_PT6_PKS5_21rocsparse_index_base_b,"axG",@progbits,_ZN9rocsparseL16sddmm_ell_kernelILi512ELi2E21rocsparse_complex_numIfEiiS2_S2_S2_EEv20rocsparse_operation_S3_16rocsparse_order_S4_T3_S5_S5_T2_NS_24const_host_device_scalarIT1_EEPKT4_lPKT5_lS9_PT6_PKS5_21rocsparse_index_base_b,comdat
.Lfunc_end22:
	.size	_ZN9rocsparseL16sddmm_ell_kernelILi512ELi2E21rocsparse_complex_numIfEiiS2_S2_S2_EEv20rocsparse_operation_S3_16rocsparse_order_S4_T3_S5_S5_T2_NS_24const_host_device_scalarIT1_EEPKT4_lPKT5_lS9_PT6_PKS5_21rocsparse_index_base_b, .Lfunc_end22-_ZN9rocsparseL16sddmm_ell_kernelILi512ELi2E21rocsparse_complex_numIfEiiS2_S2_S2_EEv20rocsparse_operation_S3_16rocsparse_order_S4_T3_S5_S5_T2_NS_24const_host_device_scalarIT1_EEPKT4_lPKT5_lS9_PT6_PKS5_21rocsparse_index_base_b
                                        ; -- End function
	.set _ZN9rocsparseL16sddmm_ell_kernelILi512ELi2E21rocsparse_complex_numIfEiiS2_S2_S2_EEv20rocsparse_operation_S3_16rocsparse_order_S4_T3_S5_S5_T2_NS_24const_host_device_scalarIT1_EEPKT4_lPKT5_lS9_PT6_PKS5_21rocsparse_index_base_b.num_vgpr, 22
	.set _ZN9rocsparseL16sddmm_ell_kernelILi512ELi2E21rocsparse_complex_numIfEiiS2_S2_S2_EEv20rocsparse_operation_S3_16rocsparse_order_S4_T3_S5_S5_T2_NS_24const_host_device_scalarIT1_EEPKT4_lPKT5_lS9_PT6_PKS5_21rocsparse_index_base_b.num_agpr, 0
	.set _ZN9rocsparseL16sddmm_ell_kernelILi512ELi2E21rocsparse_complex_numIfEiiS2_S2_S2_EEv20rocsparse_operation_S3_16rocsparse_order_S4_T3_S5_S5_T2_NS_24const_host_device_scalarIT1_EEPKT4_lPKT5_lS9_PT6_PKS5_21rocsparse_index_base_b.numbered_sgpr, 24
	.set _ZN9rocsparseL16sddmm_ell_kernelILi512ELi2E21rocsparse_complex_numIfEiiS2_S2_S2_EEv20rocsparse_operation_S3_16rocsparse_order_S4_T3_S5_S5_T2_NS_24const_host_device_scalarIT1_EEPKT4_lPKT5_lS9_PT6_PKS5_21rocsparse_index_base_b.num_named_barrier, 0
	.set _ZN9rocsparseL16sddmm_ell_kernelILi512ELi2E21rocsparse_complex_numIfEiiS2_S2_S2_EEv20rocsparse_operation_S3_16rocsparse_order_S4_T3_S5_S5_T2_NS_24const_host_device_scalarIT1_EEPKT4_lPKT5_lS9_PT6_PKS5_21rocsparse_index_base_b.private_seg_size, 0
	.set _ZN9rocsparseL16sddmm_ell_kernelILi512ELi2E21rocsparse_complex_numIfEiiS2_S2_S2_EEv20rocsparse_operation_S3_16rocsparse_order_S4_T3_S5_S5_T2_NS_24const_host_device_scalarIT1_EEPKT4_lPKT5_lS9_PT6_PKS5_21rocsparse_index_base_b.uses_vcc, 1
	.set _ZN9rocsparseL16sddmm_ell_kernelILi512ELi2E21rocsparse_complex_numIfEiiS2_S2_S2_EEv20rocsparse_operation_S3_16rocsparse_order_S4_T3_S5_S5_T2_NS_24const_host_device_scalarIT1_EEPKT4_lPKT5_lS9_PT6_PKS5_21rocsparse_index_base_b.uses_flat_scratch, 0
	.set _ZN9rocsparseL16sddmm_ell_kernelILi512ELi2E21rocsparse_complex_numIfEiiS2_S2_S2_EEv20rocsparse_operation_S3_16rocsparse_order_S4_T3_S5_S5_T2_NS_24const_host_device_scalarIT1_EEPKT4_lPKT5_lS9_PT6_PKS5_21rocsparse_index_base_b.has_dyn_sized_stack, 0
	.set _ZN9rocsparseL16sddmm_ell_kernelILi512ELi2E21rocsparse_complex_numIfEiiS2_S2_S2_EEv20rocsparse_operation_S3_16rocsparse_order_S4_T3_S5_S5_T2_NS_24const_host_device_scalarIT1_EEPKT4_lPKT5_lS9_PT6_PKS5_21rocsparse_index_base_b.has_recursion, 0
	.set _ZN9rocsparseL16sddmm_ell_kernelILi512ELi2E21rocsparse_complex_numIfEiiS2_S2_S2_EEv20rocsparse_operation_S3_16rocsparse_order_S4_T3_S5_S5_T2_NS_24const_host_device_scalarIT1_EEPKT4_lPKT5_lS9_PT6_PKS5_21rocsparse_index_base_b.has_indirect_call, 0
	.section	.AMDGPU.csdata,"",@progbits
; Kernel info:
; codeLenInByte = 1188
; TotalNumSgprs: 28
; NumVgprs: 22
; ScratchSize: 0
; MemoryBound: 0
; FloatMode: 240
; IeeeMode: 1
; LDSByteSize: 4096 bytes/workgroup (compile time only)
; SGPRBlocks: 3
; VGPRBlocks: 5
; NumSGPRsForWavesPerEU: 28
; NumVGPRsForWavesPerEU: 22
; Occupancy: 10
; WaveLimiterHint : 0
; COMPUTE_PGM_RSRC2:SCRATCH_EN: 0
; COMPUTE_PGM_RSRC2:USER_SGPR: 6
; COMPUTE_PGM_RSRC2:TRAP_HANDLER: 0
; COMPUTE_PGM_RSRC2:TGID_X_EN: 1
; COMPUTE_PGM_RSRC2:TGID_Y_EN: 0
; COMPUTE_PGM_RSRC2:TGID_Z_EN: 0
; COMPUTE_PGM_RSRC2:TIDIG_COMP_CNT: 0
	.section	.text._ZN9rocsparseL16sddmm_ell_kernelILi512ELi1E21rocsparse_complex_numIfEiiS2_S2_S2_EEv20rocsparse_operation_S3_16rocsparse_order_S4_T3_S5_S5_T2_NS_24const_host_device_scalarIT1_EEPKT4_lPKT5_lS9_PT6_PKS5_21rocsparse_index_base_b,"axG",@progbits,_ZN9rocsparseL16sddmm_ell_kernelILi512ELi1E21rocsparse_complex_numIfEiiS2_S2_S2_EEv20rocsparse_operation_S3_16rocsparse_order_S4_T3_S5_S5_T2_NS_24const_host_device_scalarIT1_EEPKT4_lPKT5_lS9_PT6_PKS5_21rocsparse_index_base_b,comdat
	.globl	_ZN9rocsparseL16sddmm_ell_kernelILi512ELi1E21rocsparse_complex_numIfEiiS2_S2_S2_EEv20rocsparse_operation_S3_16rocsparse_order_S4_T3_S5_S5_T2_NS_24const_host_device_scalarIT1_EEPKT4_lPKT5_lS9_PT6_PKS5_21rocsparse_index_base_b ; -- Begin function _ZN9rocsparseL16sddmm_ell_kernelILi512ELi1E21rocsparse_complex_numIfEiiS2_S2_S2_EEv20rocsparse_operation_S3_16rocsparse_order_S4_T3_S5_S5_T2_NS_24const_host_device_scalarIT1_EEPKT4_lPKT5_lS9_PT6_PKS5_21rocsparse_index_base_b
	.p2align	8
	.type	_ZN9rocsparseL16sddmm_ell_kernelILi512ELi1E21rocsparse_complex_numIfEiiS2_S2_S2_EEv20rocsparse_operation_S3_16rocsparse_order_S4_T3_S5_S5_T2_NS_24const_host_device_scalarIT1_EEPKT4_lPKT5_lS9_PT6_PKS5_21rocsparse_index_base_b,@function
_ZN9rocsparseL16sddmm_ell_kernelILi512ELi1E21rocsparse_complex_numIfEiiS2_S2_S2_EEv20rocsparse_operation_S3_16rocsparse_order_S4_T3_S5_S5_T2_NS_24const_host_device_scalarIT1_EEPKT4_lPKT5_lS9_PT6_PKS5_21rocsparse_index_base_b: ; @_ZN9rocsparseL16sddmm_ell_kernelILi512ELi1E21rocsparse_complex_numIfEiiS2_S2_S2_EEv20rocsparse_operation_S3_16rocsparse_order_S4_T3_S5_S5_T2_NS_24const_host_device_scalarIT1_EEPKT4_lPKT5_lS9_PT6_PKS5_21rocsparse_index_base_b
; %bb.0:
	s_load_dwordx2 s[0:1], s[4:5], 0x20
	s_load_dwordx4 s[8:11], s[4:5], 0x40
	s_load_dwordx2 s[2:3], s[4:5], 0x60
	s_add_u32 s7, s4, 32
	s_addc_u32 s12, s5, 0
	s_add_u32 s13, s4, 0x48
	s_addc_u32 s14, s5, 0
	s_waitcnt lgkmcnt(0)
	s_bitcmp1_b32 s3, 0
	s_cselect_b32 s1, s12, s1
	s_cselect_b32 s0, s7, s0
	v_mov_b32_e32 v1, s0
	v_mov_b32_e32 v2, s1
	flat_load_dwordx2 v[1:2], v[1:2]
	s_cselect_b32 s0, s14, s11
	s_cselect_b32 s1, s13, s10
	v_mov_b32_e32 v3, s1
	v_mov_b32_e32 v4, s0
	flat_load_dwordx2 v[3:4], v[3:4]
	s_mov_b64 s[0:1], -1
	s_waitcnt vmcnt(0) lgkmcnt(0)
	v_or_b32_e32 v5, v1, v2
	v_and_b32_e32 v5, 0x7fffffff, v5
	v_cmp_eq_u32_e32 vcc, 0, v5
	s_and_saveexec_b64 s[10:11], vcc
; %bb.1:
	v_cmp_neq_f32_e32 vcc, 1.0, v3
	v_cmp_neq_f32_e64 s[0:1], 0, v4
	s_or_b64 s[0:1], vcc, s[0:1]
	s_orn2_b64 s[0:1], s[0:1], exec
; %bb.2:
	s_or_b64 exec, exec, s[10:11]
	s_and_saveexec_b64 s[10:11], s[0:1]
	s_cbranch_execz .LBB23_26
; %bb.3:
	s_load_dwordx2 s[10:11], s[4:5], 0x18
	v_lshl_or_b32 v5, s6, 9, v0
	s_waitcnt lgkmcnt(0)
	v_cmp_gt_i32_e32 vcc, s11, v5
	s_and_b64 exec, exec, vcc
	s_cbranch_execz .LBB23_26
; %bb.4:
	s_load_dwordx2 s[0:1], s[4:5], 0x58
	v_ashrrev_i32_e32 v6, 31, v5
	v_lshlrev_b64 v[7:8], 2, v[5:6]
	s_waitcnt lgkmcnt(0)
	v_mov_b32_e32 v9, s1
	v_add_co_u32_e32 v7, vcc, s0, v7
	v_addc_co_u32_e32 v8, vcc, v9, v8, vcc
	global_load_dword v7, v[7:8], off
	s_waitcnt vmcnt(0)
	v_subrev_u32_e32 v7, s2, v7
	v_cmp_lt_i32_e32 vcc, -1, v7
	s_and_b64 exec, exec, vcc
	s_cbranch_execz .LBB23_26
; %bb.5:
	s_load_dwordx4 s[0:3], s[4:5], 0x0
	s_load_dword s11, s[4:5], 0x10
	v_sub_u32_e32 v10, 0, v5
	v_max_i32_e32 v10, v5, v10
	s_load_dwordx2 s[14:15], s[4:5], 0x30
	s_waitcnt lgkmcnt(0)
	s_cmp_eq_u32 s2, 1
	s_cselect_b64 s[6:7], -1, 0
	s_cmpk_eq_i32 s0, 0x6f
	s_cselect_b64 s[12:13], -1, 0
	s_cmpk_lg_i32 s0, 0x6f
	s_cselect_b64 s[16:17], -1, 0
	s_abs_i32 s0, s11
	v_cvt_f32_u32_e32 v8, s0
	s_sub_i32 s11, 0, s0
	s_cmp_lg_u32 s2, 1
	v_rcp_iflag_f32_e32 v8, v8
	v_mul_f32_e32 v8, 0x4f7ffffe, v8
	v_cvt_u32_f32_e32 v8, v8
	v_mul_lo_u32 v9, s11, v8
	v_mul_hi_u32 v9, v8, v9
	v_add_u32_e32 v8, v8, v9
	v_mul_hi_u32 v8, v10, v8
	v_mul_lo_u32 v8, v8, s0
	v_sub_u32_e32 v8, v10, v8
	v_subrev_u32_e32 v9, s0, v8
	v_cmp_le_u32_e32 vcc, s0, v8
	v_cndmask_b32_e32 v8, v8, v9, vcc
	v_subrev_u32_e32 v9, s0, v8
	v_cmp_le_u32_e32 vcc, s0, v8
	v_cndmask_b32_e32 v8, v8, v9, vcc
	v_xor_b32_e32 v8, v8, v6
	v_sub_u32_e32 v11, v8, v6
	v_ashrrev_i32_e32 v12, 31, v11
	s_cbranch_scc0 .LBB23_9
; %bb.6:
	v_mov_b32_e32 v9, v11
	s_andn2_b64 vcc, exec, s[12:13]
	v_mov_b32_e32 v10, v12
	s_cbranch_vccnz .LBB23_8
; %bb.7:
	v_mul_lo_u32 v8, s15, v11
	v_mul_lo_u32 v13, s14, v12
	v_mad_u64_u32 v[9:10], s[18:19], s14, v11, 0
	v_add3_u32 v10, v10, v13, v8
.LBB23_8:
	s_cbranch_execz .LBB23_10
	s_branch .LBB23_13
.LBB23_9:
                                        ; implicit-def: $vgpr9_vgpr10
.LBB23_10:
	s_andn2_b64 vcc, exec, s[16:17]
	s_cbranch_vccnz .LBB23_12
; %bb.11:
	v_mul_lo_u32 v8, s15, v11
	v_mul_lo_u32 v9, s14, v12
	v_mad_u64_u32 v[11:12], s[16:17], s14, v11, 0
	v_add3_u32 v12, v12, v9, v8
.LBB23_12:
	v_mov_b32_e32 v9, v11
	v_mov_b32_e32 v10, v12
.LBB23_13:
	s_cmp_eq_u32 s3, 1
	s_cselect_b64 s[16:17], -1, 0
	s_cmpk_eq_i32 s1, 0x6f
	s_cselect_b64 s[18:19], -1, 0
	s_cmpk_lg_i32 s1, 0x6f
	s_cselect_b64 s[0:1], -1, 0
	s_cmp_lg_u32 s3, 1
	v_mov_b32_e32 v8, 0
	s_cbranch_scc0 .LBB23_17
; %bb.14:
	v_mov_b32_e32 v12, v8
	s_andn2_b64 vcc, exec, s[0:1]
	v_mov_b32_e32 v11, v7
	s_cbranch_vccnz .LBB23_16
; %bb.15:
	v_mad_u64_u32 v[11:12], s[0:1], s8, v7, 0
	v_mad_u64_u32 v[12:13], s[0:1], s9, v7, v[12:13]
.LBB23_16:
	s_cbranch_execz .LBB23_18
	s_branch .LBB23_21
.LBB23_17:
                                        ; implicit-def: $vgpr11_vgpr12
.LBB23_18:
	s_andn2_b64 vcc, exec, s[18:19]
	s_cbranch_vccnz .LBB23_20
; %bb.19:
	v_mad_u64_u32 v[11:12], s[0:1], s8, v7, 0
	v_mov_b32_e32 v8, v12
	v_mad_u64_u32 v[7:8], s[0:1], s9, v7, v[8:9]
	v_mov_b32_e32 v12, v7
	v_mov_b32_e32 v7, v11
	;; [unrolled: 1-line block ×3, first 2 shown]
.LBB23_20:
	v_mov_b32_e32 v12, v8
	v_mov_b32_e32 v11, v7
.LBB23_21:
	s_load_dwordx2 s[0:1], s[4:5], 0x50
	s_cmp_lt_i32 s10, 1
	s_cbranch_scc1 .LBB23_24
; %bb.22:
	s_load_dwordx2 s[2:3], s[4:5], 0x28
	s_load_dwordx2 s[20:21], s[4:5], 0x38
	v_lshlrev_b64 v[7:8], 3, v[9:10]
	s_waitcnt lgkmcnt(0)
	v_mov_b32_e32 v9, s3
	v_add_co_u32_e32 v7, vcc, s2, v7
	s_xor_b64 s[2:3], s[12:13], s[6:7]
	v_addc_co_u32_e32 v8, vcc, v9, v8, vcc
	s_and_b64 s[2:3], s[2:3], exec
	v_lshlrev_b64 v[9:10], 3, v[11:12]
	s_cselect_b32 s3, 0, s15
	s_cselect_b32 s2, 1, s14
	s_xor_b64 s[4:5], s[18:19], s[16:17]
	s_and_b64 s[4:5], s[4:5], exec
	v_mov_b32_e32 v11, s21
	v_add_co_u32_e32 v9, vcc, s20, v9
	s_cselect_b32 s5, s9, 0
	s_cselect_b32 s4, s8, 1
	v_addc_co_u32_e32 v10, vcc, v11, v10, vcc
	s_lshl_b64 s[2:3], s[2:3], 3
	v_add_co_u32_e32 v11, vcc, 4, v9
	s_lshl_b64 s[4:5], s[4:5], 3
	v_addc_co_u32_e32 v12, vcc, 0, v10, vcc
	v_mov_b32_e32 v10, 0
	v_mov_b32_e32 v13, s3
	;; [unrolled: 1-line block ×4, first 2 shown]
.LBB23_23:                              ; =>This Inner Loop Header: Depth=1
	global_load_dwordx2 v[15:16], v[7:8], off
	global_load_dwordx2 v[17:18], v[11:12], off offset:-4
	v_add_co_u32_e32 v7, vcc, s2, v7
	v_addc_co_u32_e32 v8, vcc, v8, v13, vcc
	s_add_i32 s10, s10, -1
	v_add_co_u32_e32 v11, vcc, s4, v11
	v_addc_co_u32_e32 v12, vcc, v12, v14, vcc
	s_cmp_eq_u32 s10, 0
	s_waitcnt vmcnt(0)
	v_mul_f32_e64 v19, v18, -v16
	v_mul_f32_e32 v18, v18, v15
	v_fmac_f32_e32 v19, v15, v17
	v_fmac_f32_e32 v18, v16, v17
	v_add_f32_e32 v9, v9, v19
	v_add_f32_e32 v10, v10, v18
	s_cbranch_scc0 .LBB23_23
	s_branch .LBB23_25
.LBB23_24:
	v_mov_b32_e32 v10, 0
	v_mov_b32_e32 v9, 0
.LBB23_25:
	v_lshlrev_b64 v[5:6], 3, v[5:6]
	s_waitcnt lgkmcnt(0)
	v_mov_b32_e32 v7, s1
	v_add_co_u32_e32 v5, vcc, s0, v5
	v_lshlrev_b32_e32 v0, 3, v0
	v_addc_co_u32_e32 v6, vcc, v7, v6, vcc
	ds_write_b64 v0, v[9:10]
	s_waitcnt lgkmcnt(0)
	s_barrier
	global_load_dwordx2 v[7:8], v[5:6], off
	ds_read_b64 v[9:10], v0
	s_waitcnt lgkmcnt(0)
	v_mul_f32_e64 v0, v10, -v2
	v_mul_f32_e32 v10, v10, v1
	v_fmac_f32_e32 v0, v1, v9
	v_fmac_f32_e32 v10, v2, v9
	s_waitcnt vmcnt(0)
	v_mul_f32_e64 v1, v4, -v8
	v_mul_f32_e32 v2, v4, v7
	v_fmac_f32_e32 v1, v7, v3
	v_fmac_f32_e32 v2, v8, v3
	v_add_f32_e32 v0, v0, v1
	v_add_f32_e32 v1, v10, v2
	global_store_dwordx2 v[5:6], v[0:1], off
.LBB23_26:
	s_endpgm
	.section	.rodata,"a",@progbits
	.p2align	6, 0x0
	.amdhsa_kernel _ZN9rocsparseL16sddmm_ell_kernelILi512ELi1E21rocsparse_complex_numIfEiiS2_S2_S2_EEv20rocsparse_operation_S3_16rocsparse_order_S4_T3_S5_S5_T2_NS_24const_host_device_scalarIT1_EEPKT4_lPKT5_lS9_PT6_PKS5_21rocsparse_index_base_b
		.amdhsa_group_segment_fixed_size 4096
		.amdhsa_private_segment_fixed_size 0
		.amdhsa_kernarg_size 104
		.amdhsa_user_sgpr_count 6
		.amdhsa_user_sgpr_private_segment_buffer 1
		.amdhsa_user_sgpr_dispatch_ptr 0
		.amdhsa_user_sgpr_queue_ptr 0
		.amdhsa_user_sgpr_kernarg_segment_ptr 1
		.amdhsa_user_sgpr_dispatch_id 0
		.amdhsa_user_sgpr_flat_scratch_init 0
		.amdhsa_user_sgpr_private_segment_size 0
		.amdhsa_uses_dynamic_stack 0
		.amdhsa_system_sgpr_private_segment_wavefront_offset 0
		.amdhsa_system_sgpr_workgroup_id_x 1
		.amdhsa_system_sgpr_workgroup_id_y 0
		.amdhsa_system_sgpr_workgroup_id_z 0
		.amdhsa_system_sgpr_workgroup_info 0
		.amdhsa_system_vgpr_workitem_id 0
		.amdhsa_next_free_vgpr 20
		.amdhsa_next_free_sgpr 22
		.amdhsa_reserve_vcc 1
		.amdhsa_reserve_flat_scratch 0
		.amdhsa_float_round_mode_32 0
		.amdhsa_float_round_mode_16_64 0
		.amdhsa_float_denorm_mode_32 3
		.amdhsa_float_denorm_mode_16_64 3
		.amdhsa_dx10_clamp 1
		.amdhsa_ieee_mode 1
		.amdhsa_fp16_overflow 0
		.amdhsa_exception_fp_ieee_invalid_op 0
		.amdhsa_exception_fp_denorm_src 0
		.amdhsa_exception_fp_ieee_div_zero 0
		.amdhsa_exception_fp_ieee_overflow 0
		.amdhsa_exception_fp_ieee_underflow 0
		.amdhsa_exception_fp_ieee_inexact 0
		.amdhsa_exception_int_div_zero 0
	.end_amdhsa_kernel
	.section	.text._ZN9rocsparseL16sddmm_ell_kernelILi512ELi1E21rocsparse_complex_numIfEiiS2_S2_S2_EEv20rocsparse_operation_S3_16rocsparse_order_S4_T3_S5_S5_T2_NS_24const_host_device_scalarIT1_EEPKT4_lPKT5_lS9_PT6_PKS5_21rocsparse_index_base_b,"axG",@progbits,_ZN9rocsparseL16sddmm_ell_kernelILi512ELi1E21rocsparse_complex_numIfEiiS2_S2_S2_EEv20rocsparse_operation_S3_16rocsparse_order_S4_T3_S5_S5_T2_NS_24const_host_device_scalarIT1_EEPKT4_lPKT5_lS9_PT6_PKS5_21rocsparse_index_base_b,comdat
.Lfunc_end23:
	.size	_ZN9rocsparseL16sddmm_ell_kernelILi512ELi1E21rocsparse_complex_numIfEiiS2_S2_S2_EEv20rocsparse_operation_S3_16rocsparse_order_S4_T3_S5_S5_T2_NS_24const_host_device_scalarIT1_EEPKT4_lPKT5_lS9_PT6_PKS5_21rocsparse_index_base_b, .Lfunc_end23-_ZN9rocsparseL16sddmm_ell_kernelILi512ELi1E21rocsparse_complex_numIfEiiS2_S2_S2_EEv20rocsparse_operation_S3_16rocsparse_order_S4_T3_S5_S5_T2_NS_24const_host_device_scalarIT1_EEPKT4_lPKT5_lS9_PT6_PKS5_21rocsparse_index_base_b
                                        ; -- End function
	.set _ZN9rocsparseL16sddmm_ell_kernelILi512ELi1E21rocsparse_complex_numIfEiiS2_S2_S2_EEv20rocsparse_operation_S3_16rocsparse_order_S4_T3_S5_S5_T2_NS_24const_host_device_scalarIT1_EEPKT4_lPKT5_lS9_PT6_PKS5_21rocsparse_index_base_b.num_vgpr, 20
	.set _ZN9rocsparseL16sddmm_ell_kernelILi512ELi1E21rocsparse_complex_numIfEiiS2_S2_S2_EEv20rocsparse_operation_S3_16rocsparse_order_S4_T3_S5_S5_T2_NS_24const_host_device_scalarIT1_EEPKT4_lPKT5_lS9_PT6_PKS5_21rocsparse_index_base_b.num_agpr, 0
	.set _ZN9rocsparseL16sddmm_ell_kernelILi512ELi1E21rocsparse_complex_numIfEiiS2_S2_S2_EEv20rocsparse_operation_S3_16rocsparse_order_S4_T3_S5_S5_T2_NS_24const_host_device_scalarIT1_EEPKT4_lPKT5_lS9_PT6_PKS5_21rocsparse_index_base_b.numbered_sgpr, 22
	.set _ZN9rocsparseL16sddmm_ell_kernelILi512ELi1E21rocsparse_complex_numIfEiiS2_S2_S2_EEv20rocsparse_operation_S3_16rocsparse_order_S4_T3_S5_S5_T2_NS_24const_host_device_scalarIT1_EEPKT4_lPKT5_lS9_PT6_PKS5_21rocsparse_index_base_b.num_named_barrier, 0
	.set _ZN9rocsparseL16sddmm_ell_kernelILi512ELi1E21rocsparse_complex_numIfEiiS2_S2_S2_EEv20rocsparse_operation_S3_16rocsparse_order_S4_T3_S5_S5_T2_NS_24const_host_device_scalarIT1_EEPKT4_lPKT5_lS9_PT6_PKS5_21rocsparse_index_base_b.private_seg_size, 0
	.set _ZN9rocsparseL16sddmm_ell_kernelILi512ELi1E21rocsparse_complex_numIfEiiS2_S2_S2_EEv20rocsparse_operation_S3_16rocsparse_order_S4_T3_S5_S5_T2_NS_24const_host_device_scalarIT1_EEPKT4_lPKT5_lS9_PT6_PKS5_21rocsparse_index_base_b.uses_vcc, 1
	.set _ZN9rocsparseL16sddmm_ell_kernelILi512ELi1E21rocsparse_complex_numIfEiiS2_S2_S2_EEv20rocsparse_operation_S3_16rocsparse_order_S4_T3_S5_S5_T2_NS_24const_host_device_scalarIT1_EEPKT4_lPKT5_lS9_PT6_PKS5_21rocsparse_index_base_b.uses_flat_scratch, 0
	.set _ZN9rocsparseL16sddmm_ell_kernelILi512ELi1E21rocsparse_complex_numIfEiiS2_S2_S2_EEv20rocsparse_operation_S3_16rocsparse_order_S4_T3_S5_S5_T2_NS_24const_host_device_scalarIT1_EEPKT4_lPKT5_lS9_PT6_PKS5_21rocsparse_index_base_b.has_dyn_sized_stack, 0
	.set _ZN9rocsparseL16sddmm_ell_kernelILi512ELi1E21rocsparse_complex_numIfEiiS2_S2_S2_EEv20rocsparse_operation_S3_16rocsparse_order_S4_T3_S5_S5_T2_NS_24const_host_device_scalarIT1_EEPKT4_lPKT5_lS9_PT6_PKS5_21rocsparse_index_base_b.has_recursion, 0
	.set _ZN9rocsparseL16sddmm_ell_kernelILi512ELi1E21rocsparse_complex_numIfEiiS2_S2_S2_EEv20rocsparse_operation_S3_16rocsparse_order_S4_T3_S5_S5_T2_NS_24const_host_device_scalarIT1_EEPKT4_lPKT5_lS9_PT6_PKS5_21rocsparse_index_base_b.has_indirect_call, 0
	.section	.AMDGPU.csdata,"",@progbits
; Kernel info:
; codeLenInByte = 1012
; TotalNumSgprs: 26
; NumVgprs: 20
; ScratchSize: 0
; MemoryBound: 0
; FloatMode: 240
; IeeeMode: 1
; LDSByteSize: 4096 bytes/workgroup (compile time only)
; SGPRBlocks: 3
; VGPRBlocks: 4
; NumSGPRsForWavesPerEU: 26
; NumVGPRsForWavesPerEU: 20
; Occupancy: 10
; WaveLimiterHint : 0
; COMPUTE_PGM_RSRC2:SCRATCH_EN: 0
; COMPUTE_PGM_RSRC2:USER_SGPR: 6
; COMPUTE_PGM_RSRC2:TRAP_HANDLER: 0
; COMPUTE_PGM_RSRC2:TGID_X_EN: 1
; COMPUTE_PGM_RSRC2:TGID_Y_EN: 0
; COMPUTE_PGM_RSRC2:TGID_Z_EN: 0
; COMPUTE_PGM_RSRC2:TIDIG_COMP_CNT: 0
	.section	.text._ZN9rocsparseL23sddmm_ell_sample_kernelILi16ELi32E21rocsparse_complex_numIdEiS2_EEvT2_S3_PKT3_lS3_PS4_PKS3_21rocsparse_index_base_,"axG",@progbits,_ZN9rocsparseL23sddmm_ell_sample_kernelILi16ELi32E21rocsparse_complex_numIdEiS2_EEvT2_S3_PKT3_lS3_PS4_PKS3_21rocsparse_index_base_,comdat
	.globl	_ZN9rocsparseL23sddmm_ell_sample_kernelILi16ELi32E21rocsparse_complex_numIdEiS2_EEvT2_S3_PKT3_lS3_PS4_PKS3_21rocsparse_index_base_ ; -- Begin function _ZN9rocsparseL23sddmm_ell_sample_kernelILi16ELi32E21rocsparse_complex_numIdEiS2_EEvT2_S3_PKT3_lS3_PS4_PKS3_21rocsparse_index_base_
	.p2align	8
	.type	_ZN9rocsparseL23sddmm_ell_sample_kernelILi16ELi32E21rocsparse_complex_numIdEiS2_EEvT2_S3_PKT3_lS3_PS4_PKS3_21rocsparse_index_base_,@function
_ZN9rocsparseL23sddmm_ell_sample_kernelILi16ELi32E21rocsparse_complex_numIdEiS2_EEvT2_S3_PKT3_lS3_PS4_PKS3_21rocsparse_index_base_: ; @_ZN9rocsparseL23sddmm_ell_sample_kernelILi16ELi32E21rocsparse_complex_numIdEiS2_EEvT2_S3_PKT3_lS3_PS4_PKS3_21rocsparse_index_base_
; %bb.0:
	s_load_dword s0, s[4:5], 0x18
	v_lshrrev_b32_e32 v1, 5, v0
	v_lshl_or_b32 v1, s6, 4, v1
	s_waitcnt lgkmcnt(0)
	v_cmp_gt_u32_e32 vcc, s0, v1
	s_and_saveexec_b64 s[0:1], vcc
	s_cbranch_execz .LBB24_6
; %bb.1:
	s_load_dwordx2 s[2:3], s[4:5], 0x0
	v_and_b32_e32 v4, 31, v0
	s_waitcnt lgkmcnt(0)
	v_cmp_gt_i32_e32 vcc, s2, v4
	s_and_b64 exec, exec, vcc
	s_cbranch_execz .LBB24_6
; %bb.2:
	s_load_dwordx4 s[16:19], s[4:5], 0x8
	s_load_dwordx4 s[8:11], s[4:5], 0x20
	s_load_dword s12, s[4:5], 0x30
	v_mul_lo_u32 v5, v1, s2
	v_and_b32_e32 v0, 31, v0
	v_lshlrev_b32_e32 v0, 4, v0
	s_waitcnt lgkmcnt(0)
	v_mov_b32_e32 v3, s17
	v_add_co_u32_e32 v2, vcc, s16, v0
	s_lshl_b64 s[4:5], s[18:19], 4
	v_mov_b32_e32 v1, 0
	v_addc_co_u32_e32 v3, vcc, 0, v3, vcc
	s_mov_b64 s[6:7], 0
	v_mov_b32_e32 v6, s11
	s_branch .LBB24_4
.LBB24_3:                               ;   in Loop: Header=BB24_4 Depth=1
	s_or_b64 exec, exec, s[0:1]
	v_add_u32_e32 v4, 32, v4
	v_add_co_u32_e32 v2, vcc, 0x200, v2
	v_cmp_le_i32_e64 s[0:1], s2, v4
	s_or_b64 s[6:7], s[0:1], s[6:7]
	v_addc_co_u32_e32 v3, vcc, 0, v3, vcc
	s_andn2_b64 exec, exec, s[6:7]
	s_cbranch_execz .LBB24_6
.LBB24_4:                               ; =>This Inner Loop Header: Depth=1
	v_add_u32_e32 v0, v5, v4
	v_lshlrev_b64 v[7:8], 2, v[0:1]
	v_add_co_u32_e32 v7, vcc, s10, v7
	v_addc_co_u32_e32 v8, vcc, v6, v8, vcc
	global_load_dword v7, v[7:8], off
	s_waitcnt vmcnt(0)
	v_subrev_u32_e32 v7, s12, v7
	v_cmp_lt_i32_e32 vcc, -1, v7
	v_cmp_gt_i32_e64 s[0:1], s3, v7
	s_and_b64 s[14:15], vcc, s[0:1]
	s_and_saveexec_b64 s[0:1], s[14:15]
	s_cbranch_execz .LBB24_3
; %bb.5:                                ;   in Loop: Header=BB24_4 Depth=1
	v_mad_u64_u32 v[8:9], s[14:15], s4, v7, v[2:3]
	v_lshlrev_b64 v[11:12], 4, v[0:1]
	v_mov_b32_e32 v0, s9
	v_mad_u64_u32 v[9:10], s[14:15], s5, v7, v[9:10]
	v_add_co_u32_e32 v11, vcc, s8, v11
	global_load_dwordx4 v[7:10], v[8:9], off
	v_addc_co_u32_e32 v12, vcc, v0, v12, vcc
	s_waitcnt vmcnt(0)
	global_store_dwordx4 v[11:12], v[7:10], off
	s_branch .LBB24_3
.LBB24_6:
	s_endpgm
	.section	.rodata,"a",@progbits
	.p2align	6, 0x0
	.amdhsa_kernel _ZN9rocsparseL23sddmm_ell_sample_kernelILi16ELi32E21rocsparse_complex_numIdEiS2_EEvT2_S3_PKT3_lS3_PS4_PKS3_21rocsparse_index_base_
		.amdhsa_group_segment_fixed_size 0
		.amdhsa_private_segment_fixed_size 0
		.amdhsa_kernarg_size 52
		.amdhsa_user_sgpr_count 6
		.amdhsa_user_sgpr_private_segment_buffer 1
		.amdhsa_user_sgpr_dispatch_ptr 0
		.amdhsa_user_sgpr_queue_ptr 0
		.amdhsa_user_sgpr_kernarg_segment_ptr 1
		.amdhsa_user_sgpr_dispatch_id 0
		.amdhsa_user_sgpr_flat_scratch_init 0
		.amdhsa_user_sgpr_private_segment_size 0
		.amdhsa_uses_dynamic_stack 0
		.amdhsa_system_sgpr_private_segment_wavefront_offset 0
		.amdhsa_system_sgpr_workgroup_id_x 1
		.amdhsa_system_sgpr_workgroup_id_y 0
		.amdhsa_system_sgpr_workgroup_id_z 0
		.amdhsa_system_sgpr_workgroup_info 0
		.amdhsa_system_vgpr_workitem_id 0
		.amdhsa_next_free_vgpr 13
		.amdhsa_next_free_sgpr 20
		.amdhsa_reserve_vcc 1
		.amdhsa_reserve_flat_scratch 0
		.amdhsa_float_round_mode_32 0
		.amdhsa_float_round_mode_16_64 0
		.amdhsa_float_denorm_mode_32 3
		.amdhsa_float_denorm_mode_16_64 3
		.amdhsa_dx10_clamp 1
		.amdhsa_ieee_mode 1
		.amdhsa_fp16_overflow 0
		.amdhsa_exception_fp_ieee_invalid_op 0
		.amdhsa_exception_fp_denorm_src 0
		.amdhsa_exception_fp_ieee_div_zero 0
		.amdhsa_exception_fp_ieee_overflow 0
		.amdhsa_exception_fp_ieee_underflow 0
		.amdhsa_exception_fp_ieee_inexact 0
		.amdhsa_exception_int_div_zero 0
	.end_amdhsa_kernel
	.section	.text._ZN9rocsparseL23sddmm_ell_sample_kernelILi16ELi32E21rocsparse_complex_numIdEiS2_EEvT2_S3_PKT3_lS3_PS4_PKS3_21rocsparse_index_base_,"axG",@progbits,_ZN9rocsparseL23sddmm_ell_sample_kernelILi16ELi32E21rocsparse_complex_numIdEiS2_EEvT2_S3_PKT3_lS3_PS4_PKS3_21rocsparse_index_base_,comdat
.Lfunc_end24:
	.size	_ZN9rocsparseL23sddmm_ell_sample_kernelILi16ELi32E21rocsparse_complex_numIdEiS2_EEvT2_S3_PKT3_lS3_PS4_PKS3_21rocsparse_index_base_, .Lfunc_end24-_ZN9rocsparseL23sddmm_ell_sample_kernelILi16ELi32E21rocsparse_complex_numIdEiS2_EEvT2_S3_PKT3_lS3_PS4_PKS3_21rocsparse_index_base_
                                        ; -- End function
	.set _ZN9rocsparseL23sddmm_ell_sample_kernelILi16ELi32E21rocsparse_complex_numIdEiS2_EEvT2_S3_PKT3_lS3_PS4_PKS3_21rocsparse_index_base_.num_vgpr, 13
	.set _ZN9rocsparseL23sddmm_ell_sample_kernelILi16ELi32E21rocsparse_complex_numIdEiS2_EEvT2_S3_PKT3_lS3_PS4_PKS3_21rocsparse_index_base_.num_agpr, 0
	.set _ZN9rocsparseL23sddmm_ell_sample_kernelILi16ELi32E21rocsparse_complex_numIdEiS2_EEvT2_S3_PKT3_lS3_PS4_PKS3_21rocsparse_index_base_.numbered_sgpr, 20
	.set _ZN9rocsparseL23sddmm_ell_sample_kernelILi16ELi32E21rocsparse_complex_numIdEiS2_EEvT2_S3_PKT3_lS3_PS4_PKS3_21rocsparse_index_base_.num_named_barrier, 0
	.set _ZN9rocsparseL23sddmm_ell_sample_kernelILi16ELi32E21rocsparse_complex_numIdEiS2_EEvT2_S3_PKT3_lS3_PS4_PKS3_21rocsparse_index_base_.private_seg_size, 0
	.set _ZN9rocsparseL23sddmm_ell_sample_kernelILi16ELi32E21rocsparse_complex_numIdEiS2_EEvT2_S3_PKT3_lS3_PS4_PKS3_21rocsparse_index_base_.uses_vcc, 1
	.set _ZN9rocsparseL23sddmm_ell_sample_kernelILi16ELi32E21rocsparse_complex_numIdEiS2_EEvT2_S3_PKT3_lS3_PS4_PKS3_21rocsparse_index_base_.uses_flat_scratch, 0
	.set _ZN9rocsparseL23sddmm_ell_sample_kernelILi16ELi32E21rocsparse_complex_numIdEiS2_EEvT2_S3_PKT3_lS3_PS4_PKS3_21rocsparse_index_base_.has_dyn_sized_stack, 0
	.set _ZN9rocsparseL23sddmm_ell_sample_kernelILi16ELi32E21rocsparse_complex_numIdEiS2_EEvT2_S3_PKT3_lS3_PS4_PKS3_21rocsparse_index_base_.has_recursion, 0
	.set _ZN9rocsparseL23sddmm_ell_sample_kernelILi16ELi32E21rocsparse_complex_numIdEiS2_EEvT2_S3_PKT3_lS3_PS4_PKS3_21rocsparse_index_base_.has_indirect_call, 0
	.section	.AMDGPU.csdata,"",@progbits
; Kernel info:
; codeLenInByte = 304
; TotalNumSgprs: 24
; NumVgprs: 13
; ScratchSize: 0
; MemoryBound: 0
; FloatMode: 240
; IeeeMode: 1
; LDSByteSize: 0 bytes/workgroup (compile time only)
; SGPRBlocks: 2
; VGPRBlocks: 3
; NumSGPRsForWavesPerEU: 24
; NumVGPRsForWavesPerEU: 13
; Occupancy: 10
; WaveLimiterHint : 0
; COMPUTE_PGM_RSRC2:SCRATCH_EN: 0
; COMPUTE_PGM_RSRC2:USER_SGPR: 6
; COMPUTE_PGM_RSRC2:TRAP_HANDLER: 0
; COMPUTE_PGM_RSRC2:TGID_X_EN: 1
; COMPUTE_PGM_RSRC2:TGID_Y_EN: 0
; COMPUTE_PGM_RSRC2:TGID_Z_EN: 0
; COMPUTE_PGM_RSRC2:TIDIG_COMP_CNT: 0
	.section	.text._ZN9rocsparseL23sddmm_ell_sample_kernelILi16ELi64E21rocsparse_complex_numIdEiS2_EEvT2_S3_PKT3_lS3_PS4_PKS3_21rocsparse_index_base_,"axG",@progbits,_ZN9rocsparseL23sddmm_ell_sample_kernelILi16ELi64E21rocsparse_complex_numIdEiS2_EEvT2_S3_PKT3_lS3_PS4_PKS3_21rocsparse_index_base_,comdat
	.globl	_ZN9rocsparseL23sddmm_ell_sample_kernelILi16ELi64E21rocsparse_complex_numIdEiS2_EEvT2_S3_PKT3_lS3_PS4_PKS3_21rocsparse_index_base_ ; -- Begin function _ZN9rocsparseL23sddmm_ell_sample_kernelILi16ELi64E21rocsparse_complex_numIdEiS2_EEvT2_S3_PKT3_lS3_PS4_PKS3_21rocsparse_index_base_
	.p2align	8
	.type	_ZN9rocsparseL23sddmm_ell_sample_kernelILi16ELi64E21rocsparse_complex_numIdEiS2_EEvT2_S3_PKT3_lS3_PS4_PKS3_21rocsparse_index_base_,@function
_ZN9rocsparseL23sddmm_ell_sample_kernelILi16ELi64E21rocsparse_complex_numIdEiS2_EEvT2_S3_PKT3_lS3_PS4_PKS3_21rocsparse_index_base_: ; @_ZN9rocsparseL23sddmm_ell_sample_kernelILi16ELi64E21rocsparse_complex_numIdEiS2_EEvT2_S3_PKT3_lS3_PS4_PKS3_21rocsparse_index_base_
; %bb.0:
	s_load_dword s0, s[4:5], 0x18
	v_lshrrev_b32_e32 v1, 6, v0
	v_lshl_or_b32 v1, s6, 4, v1
	s_waitcnt lgkmcnt(0)
	v_cmp_gt_u32_e32 vcc, s0, v1
	s_and_saveexec_b64 s[0:1], vcc
	s_cbranch_execz .LBB25_6
; %bb.1:
	s_load_dwordx2 s[2:3], s[4:5], 0x0
	v_and_b32_e32 v4, 63, v0
	s_waitcnt lgkmcnt(0)
	v_cmp_gt_i32_e32 vcc, s2, v4
	s_and_b64 exec, exec, vcc
	s_cbranch_execz .LBB25_6
; %bb.2:
	s_load_dwordx4 s[16:19], s[4:5], 0x8
	s_load_dwordx4 s[8:11], s[4:5], 0x20
	s_load_dword s12, s[4:5], 0x30
	v_mul_lo_u32 v5, v1, s2
	v_and_b32_e32 v0, 63, v0
	v_lshlrev_b32_e32 v0, 4, v0
	s_waitcnt lgkmcnt(0)
	v_mov_b32_e32 v3, s17
	v_add_co_u32_e32 v2, vcc, s16, v0
	s_lshl_b64 s[4:5], s[18:19], 4
	v_mov_b32_e32 v1, 0
	v_addc_co_u32_e32 v3, vcc, 0, v3, vcc
	s_mov_b64 s[6:7], 0
	v_mov_b32_e32 v6, s11
	s_branch .LBB25_4
.LBB25_3:                               ;   in Loop: Header=BB25_4 Depth=1
	s_or_b64 exec, exec, s[0:1]
	v_add_u32_e32 v4, 64, v4
	v_add_co_u32_e32 v2, vcc, 0x400, v2
	v_cmp_le_i32_e64 s[0:1], s2, v4
	s_or_b64 s[6:7], s[0:1], s[6:7]
	v_addc_co_u32_e32 v3, vcc, 0, v3, vcc
	s_andn2_b64 exec, exec, s[6:7]
	s_cbranch_execz .LBB25_6
.LBB25_4:                               ; =>This Inner Loop Header: Depth=1
	v_add_u32_e32 v0, v5, v4
	v_lshlrev_b64 v[7:8], 2, v[0:1]
	v_add_co_u32_e32 v7, vcc, s10, v7
	v_addc_co_u32_e32 v8, vcc, v6, v8, vcc
	global_load_dword v7, v[7:8], off
	s_waitcnt vmcnt(0)
	v_subrev_u32_e32 v7, s12, v7
	v_cmp_lt_i32_e32 vcc, -1, v7
	v_cmp_gt_i32_e64 s[0:1], s3, v7
	s_and_b64 s[14:15], vcc, s[0:1]
	s_and_saveexec_b64 s[0:1], s[14:15]
	s_cbranch_execz .LBB25_3
; %bb.5:                                ;   in Loop: Header=BB25_4 Depth=1
	v_mad_u64_u32 v[8:9], s[14:15], s4, v7, v[2:3]
	v_lshlrev_b64 v[11:12], 4, v[0:1]
	v_mov_b32_e32 v0, s9
	v_mad_u64_u32 v[9:10], s[14:15], s5, v7, v[9:10]
	v_add_co_u32_e32 v11, vcc, s8, v11
	global_load_dwordx4 v[7:10], v[8:9], off
	v_addc_co_u32_e32 v12, vcc, v0, v12, vcc
	s_waitcnt vmcnt(0)
	global_store_dwordx4 v[11:12], v[7:10], off
	s_branch .LBB25_3
.LBB25_6:
	s_endpgm
	.section	.rodata,"a",@progbits
	.p2align	6, 0x0
	.amdhsa_kernel _ZN9rocsparseL23sddmm_ell_sample_kernelILi16ELi64E21rocsparse_complex_numIdEiS2_EEvT2_S3_PKT3_lS3_PS4_PKS3_21rocsparse_index_base_
		.amdhsa_group_segment_fixed_size 0
		.amdhsa_private_segment_fixed_size 0
		.amdhsa_kernarg_size 52
		.amdhsa_user_sgpr_count 6
		.amdhsa_user_sgpr_private_segment_buffer 1
		.amdhsa_user_sgpr_dispatch_ptr 0
		.amdhsa_user_sgpr_queue_ptr 0
		.amdhsa_user_sgpr_kernarg_segment_ptr 1
		.amdhsa_user_sgpr_dispatch_id 0
		.amdhsa_user_sgpr_flat_scratch_init 0
		.amdhsa_user_sgpr_private_segment_size 0
		.amdhsa_uses_dynamic_stack 0
		.amdhsa_system_sgpr_private_segment_wavefront_offset 0
		.amdhsa_system_sgpr_workgroup_id_x 1
		.amdhsa_system_sgpr_workgroup_id_y 0
		.amdhsa_system_sgpr_workgroup_id_z 0
		.amdhsa_system_sgpr_workgroup_info 0
		.amdhsa_system_vgpr_workitem_id 0
		.amdhsa_next_free_vgpr 13
		.amdhsa_next_free_sgpr 20
		.amdhsa_reserve_vcc 1
		.amdhsa_reserve_flat_scratch 0
		.amdhsa_float_round_mode_32 0
		.amdhsa_float_round_mode_16_64 0
		.amdhsa_float_denorm_mode_32 3
		.amdhsa_float_denorm_mode_16_64 3
		.amdhsa_dx10_clamp 1
		.amdhsa_ieee_mode 1
		.amdhsa_fp16_overflow 0
		.amdhsa_exception_fp_ieee_invalid_op 0
		.amdhsa_exception_fp_denorm_src 0
		.amdhsa_exception_fp_ieee_div_zero 0
		.amdhsa_exception_fp_ieee_overflow 0
		.amdhsa_exception_fp_ieee_underflow 0
		.amdhsa_exception_fp_ieee_inexact 0
		.amdhsa_exception_int_div_zero 0
	.end_amdhsa_kernel
	.section	.text._ZN9rocsparseL23sddmm_ell_sample_kernelILi16ELi64E21rocsparse_complex_numIdEiS2_EEvT2_S3_PKT3_lS3_PS4_PKS3_21rocsparse_index_base_,"axG",@progbits,_ZN9rocsparseL23sddmm_ell_sample_kernelILi16ELi64E21rocsparse_complex_numIdEiS2_EEvT2_S3_PKT3_lS3_PS4_PKS3_21rocsparse_index_base_,comdat
.Lfunc_end25:
	.size	_ZN9rocsparseL23sddmm_ell_sample_kernelILi16ELi64E21rocsparse_complex_numIdEiS2_EEvT2_S3_PKT3_lS3_PS4_PKS3_21rocsparse_index_base_, .Lfunc_end25-_ZN9rocsparseL23sddmm_ell_sample_kernelILi16ELi64E21rocsparse_complex_numIdEiS2_EEvT2_S3_PKT3_lS3_PS4_PKS3_21rocsparse_index_base_
                                        ; -- End function
	.set _ZN9rocsparseL23sddmm_ell_sample_kernelILi16ELi64E21rocsparse_complex_numIdEiS2_EEvT2_S3_PKT3_lS3_PS4_PKS3_21rocsparse_index_base_.num_vgpr, 13
	.set _ZN9rocsparseL23sddmm_ell_sample_kernelILi16ELi64E21rocsparse_complex_numIdEiS2_EEvT2_S3_PKT3_lS3_PS4_PKS3_21rocsparse_index_base_.num_agpr, 0
	.set _ZN9rocsparseL23sddmm_ell_sample_kernelILi16ELi64E21rocsparse_complex_numIdEiS2_EEvT2_S3_PKT3_lS3_PS4_PKS3_21rocsparse_index_base_.numbered_sgpr, 20
	.set _ZN9rocsparseL23sddmm_ell_sample_kernelILi16ELi64E21rocsparse_complex_numIdEiS2_EEvT2_S3_PKT3_lS3_PS4_PKS3_21rocsparse_index_base_.num_named_barrier, 0
	.set _ZN9rocsparseL23sddmm_ell_sample_kernelILi16ELi64E21rocsparse_complex_numIdEiS2_EEvT2_S3_PKT3_lS3_PS4_PKS3_21rocsparse_index_base_.private_seg_size, 0
	.set _ZN9rocsparseL23sddmm_ell_sample_kernelILi16ELi64E21rocsparse_complex_numIdEiS2_EEvT2_S3_PKT3_lS3_PS4_PKS3_21rocsparse_index_base_.uses_vcc, 1
	.set _ZN9rocsparseL23sddmm_ell_sample_kernelILi16ELi64E21rocsparse_complex_numIdEiS2_EEvT2_S3_PKT3_lS3_PS4_PKS3_21rocsparse_index_base_.uses_flat_scratch, 0
	.set _ZN9rocsparseL23sddmm_ell_sample_kernelILi16ELi64E21rocsparse_complex_numIdEiS2_EEvT2_S3_PKT3_lS3_PS4_PKS3_21rocsparse_index_base_.has_dyn_sized_stack, 0
	.set _ZN9rocsparseL23sddmm_ell_sample_kernelILi16ELi64E21rocsparse_complex_numIdEiS2_EEvT2_S3_PKT3_lS3_PS4_PKS3_21rocsparse_index_base_.has_recursion, 0
	.set _ZN9rocsparseL23sddmm_ell_sample_kernelILi16ELi64E21rocsparse_complex_numIdEiS2_EEvT2_S3_PKT3_lS3_PS4_PKS3_21rocsparse_index_base_.has_indirect_call, 0
	.section	.AMDGPU.csdata,"",@progbits
; Kernel info:
; codeLenInByte = 304
; TotalNumSgprs: 24
; NumVgprs: 13
; ScratchSize: 0
; MemoryBound: 0
; FloatMode: 240
; IeeeMode: 1
; LDSByteSize: 0 bytes/workgroup (compile time only)
; SGPRBlocks: 2
; VGPRBlocks: 3
; NumSGPRsForWavesPerEU: 24
; NumVGPRsForWavesPerEU: 13
; Occupancy: 10
; WaveLimiterHint : 0
; COMPUTE_PGM_RSRC2:SCRATCH_EN: 0
; COMPUTE_PGM_RSRC2:USER_SGPR: 6
; COMPUTE_PGM_RSRC2:TRAP_HANDLER: 0
; COMPUTE_PGM_RSRC2:TGID_X_EN: 1
; COMPUTE_PGM_RSRC2:TGID_Y_EN: 0
; COMPUTE_PGM_RSRC2:TGID_Z_EN: 0
; COMPUTE_PGM_RSRC2:TIDIG_COMP_CNT: 0
	.section	.text._ZN9rocsparseL16sddmm_ell_kernelILi512ELi8E21rocsparse_complex_numIdEiiS2_S2_S2_EEv20rocsparse_operation_S3_16rocsparse_order_S4_T3_S5_S5_T2_NS_24const_host_device_scalarIT1_EEPKT4_lPKT5_lS9_PT6_PKS5_21rocsparse_index_base_b,"axG",@progbits,_ZN9rocsparseL16sddmm_ell_kernelILi512ELi8E21rocsparse_complex_numIdEiiS2_S2_S2_EEv20rocsparse_operation_S3_16rocsparse_order_S4_T3_S5_S5_T2_NS_24const_host_device_scalarIT1_EEPKT4_lPKT5_lS9_PT6_PKS5_21rocsparse_index_base_b,comdat
	.globl	_ZN9rocsparseL16sddmm_ell_kernelILi512ELi8E21rocsparse_complex_numIdEiiS2_S2_S2_EEv20rocsparse_operation_S3_16rocsparse_order_S4_T3_S5_S5_T2_NS_24const_host_device_scalarIT1_EEPKT4_lPKT5_lS9_PT6_PKS5_21rocsparse_index_base_b ; -- Begin function _ZN9rocsparseL16sddmm_ell_kernelILi512ELi8E21rocsparse_complex_numIdEiiS2_S2_S2_EEv20rocsparse_operation_S3_16rocsparse_order_S4_T3_S5_S5_T2_NS_24const_host_device_scalarIT1_EEPKT4_lPKT5_lS9_PT6_PKS5_21rocsparse_index_base_b
	.p2align	8
	.type	_ZN9rocsparseL16sddmm_ell_kernelILi512ELi8E21rocsparse_complex_numIdEiiS2_S2_S2_EEv20rocsparse_operation_S3_16rocsparse_order_S4_T3_S5_S5_T2_NS_24const_host_device_scalarIT1_EEPKT4_lPKT5_lS9_PT6_PKS5_21rocsparse_index_base_b,@function
_ZN9rocsparseL16sddmm_ell_kernelILi512ELi8E21rocsparse_complex_numIdEiiS2_S2_S2_EEv20rocsparse_operation_S3_16rocsparse_order_S4_T3_S5_S5_T2_NS_24const_host_device_scalarIT1_EEPKT4_lPKT5_lS9_PT6_PKS5_21rocsparse_index_base_b: ; @_ZN9rocsparseL16sddmm_ell_kernelILi512ELi8E21rocsparse_complex_numIdEiiS2_S2_S2_EEv20rocsparse_operation_S3_16rocsparse_order_S4_T3_S5_S5_T2_NS_24const_host_device_scalarIT1_EEPKT4_lPKT5_lS9_PT6_PKS5_21rocsparse_index_base_b
; %bb.0:
	s_load_dwordx2 s[0:1], s[4:5], 0x20
	s_load_dwordx4 s[8:11], s[4:5], 0x48
	s_load_dwordx2 s[2:3], s[4:5], 0x70
	s_add_u32 s7, s4, 32
	s_addc_u32 s12, s5, 0
	s_add_u32 s13, s4, 0x50
	s_addc_u32 s14, s5, 0
	s_waitcnt lgkmcnt(0)
	s_bitcmp1_b32 s3, 0
	s_cselect_b32 s1, s12, s1
	s_cselect_b32 s0, s7, s0
	v_mov_b32_e32 v1, s0
	v_mov_b32_e32 v2, s1
	flat_load_dwordx4 v[1:4], v[1:2]
	s_cselect_b32 s0, s14, s11
	s_cselect_b32 s1, s13, s10
	v_mov_b32_e32 v5, s1
	v_mov_b32_e32 v6, s0
	flat_load_dwordx4 v[5:8], v[5:6]
	s_waitcnt vmcnt(0) lgkmcnt(0)
	v_cmp_eq_f64_e32 vcc, 0, v[1:2]
	v_cmp_eq_f64_e64 s[0:1], 0, v[3:4]
	s_and_b64 s[12:13], vcc, s[0:1]
	s_mov_b64 s[0:1], -1
	s_and_saveexec_b64 s[10:11], s[12:13]
	s_cbranch_execz .LBB26_2
; %bb.1:
	v_cmp_neq_f64_e32 vcc, 1.0, v[5:6]
	v_cmp_neq_f64_e64 s[0:1], 0, v[7:8]
	s_or_b64 s[0:1], vcc, s[0:1]
	s_orn2_b64 s[0:1], s[0:1], exec
.LBB26_2:
	s_or_b64 exec, exec, s[10:11]
	s_and_saveexec_b64 s[10:11], s[0:1]
	s_cbranch_execz .LBB26_33
; %bb.3:
	s_load_dwordx2 s[10:11], s[4:5], 0x18
	v_lshrrev_b32_e32 v19, 3, v0
	v_lshl_or_b32 v13, s6, 6, v19
	s_waitcnt lgkmcnt(0)
	v_cmp_gt_i32_e32 vcc, s11, v13
	s_and_b64 exec, exec, vcc
	s_cbranch_execz .LBB26_33
; %bb.4:
	s_load_dwordx2 s[0:1], s[4:5], 0x68
	v_ashrrev_i32_e32 v14, 31, v13
	v_lshlrev_b64 v[9:10], 2, v[13:14]
	s_waitcnt lgkmcnt(0)
	v_mov_b32_e32 v11, s1
	v_add_co_u32_e32 v9, vcc, s0, v9
	v_addc_co_u32_e32 v10, vcc, v11, v10, vcc
	global_load_dword v9, v[9:10], off
	s_waitcnt vmcnt(0)
	v_subrev_u32_e32 v9, s2, v9
	v_cmp_lt_i32_e32 vcc, -1, v9
	s_and_b64 exec, exec, vcc
	s_cbranch_execz .LBB26_33
; %bb.5:
	s_load_dwordx4 s[0:3], s[4:5], 0x0
	s_load_dword s11, s[4:5], 0x10
	v_sub_u32_e32 v12, 0, v13
	v_max_i32_e32 v12, v13, v12
	s_load_dwordx2 s[14:15], s[4:5], 0x38
	s_waitcnt lgkmcnt(0)
	s_cmp_eq_u32 s2, 1
	s_cselect_b64 s[6:7], -1, 0
	s_cmpk_eq_i32 s0, 0x6f
	s_cselect_b64 s[12:13], -1, 0
	s_cmpk_lg_i32 s0, 0x6f
	s_cselect_b64 s[16:17], -1, 0
	s_abs_i32 s0, s11
	v_cvt_f32_u32_e32 v10, s0
	s_sub_i32 s11, 0, s0
	s_cmp_lg_u32 s2, 1
	v_rcp_iflag_f32_e32 v10, v10
	v_mul_f32_e32 v10, 0x4f7ffffe, v10
	v_cvt_u32_f32_e32 v10, v10
	v_mul_lo_u32 v11, s11, v10
	v_mul_hi_u32 v11, v10, v11
	v_add_u32_e32 v10, v10, v11
	v_mul_hi_u32 v10, v12, v10
	v_mul_lo_u32 v10, v10, s0
	v_sub_u32_e32 v10, v12, v10
	v_subrev_u32_e32 v11, s0, v10
	v_cmp_le_u32_e32 vcc, s0, v10
	v_cndmask_b32_e32 v10, v10, v11, vcc
	v_subrev_u32_e32 v11, s0, v10
	v_cmp_le_u32_e32 vcc, s0, v10
	v_cndmask_b32_e32 v10, v10, v11, vcc
	v_xor_b32_e32 v10, v10, v14
	v_sub_u32_e32 v10, v10, v14
	v_ashrrev_i32_e32 v11, 31, v10
	s_cbranch_scc0 .LBB26_9
; %bb.6:
	v_mov_b32_e32 v16, v11
	s_andn2_b64 vcc, exec, s[12:13]
	v_mov_b32_e32 v15, v10
	s_cbranch_vccnz .LBB26_8
; %bb.7:
	v_mul_lo_u32 v12, s15, v10
	v_mul_lo_u32 v17, s14, v11
	v_mad_u64_u32 v[15:16], s[18:19], s14, v10, 0
	v_add3_u32 v16, v16, v17, v12
.LBB26_8:
	s_cbranch_execz .LBB26_10
	s_branch .LBB26_13
.LBB26_9:
                                        ; implicit-def: $vgpr15_vgpr16
.LBB26_10:
	s_andn2_b64 vcc, exec, s[16:17]
	s_cbranch_vccnz .LBB26_12
; %bb.11:
	v_mul_lo_u32 v12, s15, v10
	v_mul_lo_u32 v15, s14, v11
	v_mad_u64_u32 v[10:11], s[16:17], s14, v10, 0
	v_add3_u32 v11, v11, v15, v12
.LBB26_12:
	v_mov_b32_e32 v16, v11
	v_mov_b32_e32 v15, v10
.LBB26_13:
	s_cmp_eq_u32 s3, 1
	s_cselect_b64 s[18:19], -1, 0
	s_cmpk_eq_i32 s1, 0x6f
	s_cselect_b64 s[20:21], -1, 0
	s_cmpk_lg_i32 s1, 0x6f
	s_cselect_b64 s[0:1], -1, 0
	s_cmp_lg_u32 s3, 1
	v_mov_b32_e32 v10, 0
	s_cbranch_scc0 .LBB26_17
; %bb.14:
	v_mov_b32_e32 v18, v10
	s_andn2_b64 vcc, exec, s[0:1]
	v_mov_b32_e32 v17, v9
	s_cbranch_vccnz .LBB26_16
; %bb.15:
	v_mad_u64_u32 v[17:18], s[0:1], s8, v9, 0
	v_mov_b32_e32 v11, v18
	v_mad_u64_u32 v[11:12], s[0:1], s9, v9, v[11:12]
	v_mov_b32_e32 v18, v11
.LBB26_16:
	s_cbranch_execz .LBB26_18
	s_branch .LBB26_21
.LBB26_17:
                                        ; implicit-def: $vgpr17_vgpr18
.LBB26_18:
	s_andn2_b64 vcc, exec, s[20:21]
	s_cbranch_vccnz .LBB26_20
; %bb.19:
	v_mad_u64_u32 v[10:11], s[0:1], s8, v9, 0
	v_mad_u64_u32 v[11:12], s[0:1], s9, v9, v[11:12]
	v_mov_b32_e32 v9, v10
	v_mov_b32_e32 v10, v11
.LBB26_20:
	v_mov_b32_e32 v18, v10
	v_mov_b32_e32 v17, v9
.LBB26_21:
	s_load_dwordx2 s[2:3], s[4:5], 0x60
	v_and_b32_e32 v20, 7, v0
	v_mov_b32_e32 v11, 0
	v_mov_b32_e32 v9, 0
	;; [unrolled: 1-line block ×4, first 2 shown]
	v_cmp_gt_i32_e32 vcc, s10, v20
	s_and_saveexec_b64 s[16:17], vcc
	s_cbranch_execz .LBB26_25
; %bb.22:
	s_xor_b64 s[0:1], s[12:13], s[6:7]
	s_and_b64 s[0:1], s[0:1], exec
	s_cselect_b32 s1, 0, s15
	s_cselect_b32 s0, 1, s14
	s_xor_b64 s[6:7], s[20:21], s[18:19]
	s_and_b64 s[6:7], s[6:7], exec
	s_cselect_b32 s6, s8, 1
	v_and_b32_e32 v21, 7, v0
	v_mad_u64_u32 v[9:10], s[12:13], s6, v21, 0
	s_cselect_b32 s7, s9, 0
	v_mov_b32_e32 v22, v20
	v_mov_b32_e32 v0, v10
	v_mad_u64_u32 v[10:11], s[8:9], s7, v21, v[0:1]
	v_lshlrev_b64 v[11:12], 4, v[17:18]
	s_load_dwordx2 s[8:9], s[4:5], 0x30
	s_load_dwordx2 s[12:13], s[4:5], 0x40
	v_lshlrev_b64 v[9:10], 4, v[9:10]
	v_add_co_u32_e32 v0, vcc, v9, v11
	v_addc_co_u32_e32 v11, vcc, v10, v12, vcc
	v_mad_u64_u32 v[9:10], s[4:5], s0, v21, 0
	s_waitcnt lgkmcnt(0)
	v_mov_b32_e32 v12, s13
	v_add_co_u32_e32 v17, vcc, s12, v0
	v_mov_b32_e32 v0, v10
	v_addc_co_u32_e32 v12, vcc, v12, v11, vcc
	v_mad_u64_u32 v[10:11], s[4:5], s1, v21, v[0:1]
	v_add_co_u32_e32 v17, vcc, 8, v17
	v_addc_co_u32_e32 v18, vcc, 0, v12, vcc
	v_lshlrev_b64 v[9:10], 4, v[9:10]
	v_lshlrev_b64 v[11:12], 4, v[15:16]
	s_lshl_b64 s[4:5], s[6:7], 7
	v_add_co_u32_e32 v0, vcc, v9, v11
	v_addc_co_u32_e32 v9, vcc, v10, v12, vcc
	v_mov_b32_e32 v10, s9
	v_add_co_u32_e32 v0, vcc, s8, v0
	v_addc_co_u32_e32 v9, vcc, v10, v9, vcc
	v_add_co_u32_e32 v15, vcc, 8, v0
	v_mov_b32_e32 v11, 0
	v_addc_co_u32_e32 v16, vcc, 0, v9, vcc
	s_lshl_b64 s[6:7], s[0:1], 7
	v_mov_b32_e32 v12, 0
	v_mov_b32_e32 v9, v11
	s_mov_b64 s[8:9], 0
	v_mov_b32_e32 v0, s5
	v_mov_b32_e32 v21, s7
	;; [unrolled: 1-line block ×3, first 2 shown]
.LBB26_23:                              ; =>This Inner Loop Header: Depth=1
	global_load_dwordx4 v[23:26], v[17:18], off offset:-8
	global_load_dwordx4 v[27:30], v[15:16], off offset:-8
	v_add_co_u32_e64 v17, s[0:1], s4, v17
	v_add_u32_e32 v22, 8, v22
	v_addc_co_u32_e64 v18, s[0:1], v18, v0, s[0:1]
	v_add_co_u32_e32 v15, vcc, s6, v15
	v_cmp_le_i32_e64 s[0:1], s10, v22
	s_or_b64 s[8:9], s[0:1], s[8:9]
	v_addc_co_u32_e32 v16, vcc, v16, v21, vcc
	s_waitcnt vmcnt(0)
	v_mul_f64 v[31:32], v[25:26], -v[29:30]
	v_mul_f64 v[25:26], v[25:26], v[27:28]
	v_fma_f64 v[27:28], v[27:28], v[23:24], v[31:32]
	v_fma_f64 v[23:24], v[29:30], v[23:24], v[25:26]
	v_add_f64 v[9:10], v[9:10], v[27:28]
	v_add_f64 v[11:12], v[11:12], v[23:24]
	s_andn2_b64 exec, exec, s[8:9]
	s_cbranch_execnz .LBB26_23
; %bb.24:
	s_or_b64 exec, exec, s[8:9]
.LBB26_25:
	s_or_b64 exec, exec, s[16:17]
	v_lshlrev_b32_e32 v0, 7, v19
	v_lshl_or_b32 v15, v20, 4, v0
	v_cmp_gt_u32_e32 vcc, 4, v20
	ds_write_b128 v15, v[9:12]
	s_waitcnt lgkmcnt(0)
	s_barrier
	s_and_saveexec_b64 s[0:1], vcc
	s_cbranch_execz .LBB26_27
; %bb.26:
	ds_read_b128 v[9:12], v15 offset:64
	ds_read_b128 v[16:19], v15
	s_waitcnt lgkmcnt(0)
	v_add_f64 v[9:10], v[9:10], v[16:17]
	v_add_f64 v[11:12], v[11:12], v[18:19]
	ds_write_b128 v15, v[9:12]
.LBB26_27:
	s_or_b64 exec, exec, s[0:1]
	v_cmp_gt_u32_e32 vcc, 2, v20
	s_waitcnt lgkmcnt(0)
	s_barrier
	s_and_saveexec_b64 s[0:1], vcc
	s_cbranch_execz .LBB26_29
; %bb.28:
	ds_read_b128 v[9:12], v15
	ds_read_b128 v[16:19], v15 offset:32
	s_waitcnt lgkmcnt(0)
	v_add_f64 v[9:10], v[16:17], v[9:10]
	v_add_f64 v[11:12], v[18:19], v[11:12]
	ds_write_b128 v15, v[9:12]
.LBB26_29:
	s_or_b64 exec, exec, s[0:1]
	v_cmp_eq_u32_e32 vcc, 0, v20
	s_waitcnt lgkmcnt(0)
	s_barrier
	s_and_saveexec_b64 s[0:1], vcc
	s_cbranch_execz .LBB26_31
; %bb.30:
	ds_read_b128 v[9:12], v15
	ds_read_b128 v[16:19], v15 offset:16
	s_waitcnt lgkmcnt(0)
	v_add_f64 v[9:10], v[16:17], v[9:10]
	v_add_f64 v[11:12], v[18:19], v[11:12]
	ds_write_b128 v15, v[9:12]
.LBB26_31:
	s_or_b64 exec, exec, s[0:1]
	s_waitcnt lgkmcnt(0)
	s_barrier
	s_and_b64 exec, exec, vcc
	s_cbranch_execz .LBB26_33
; %bb.32:
	v_lshlrev_b64 v[9:10], 4, v[13:14]
	v_mov_b32_e32 v11, s3
	v_add_co_u32_e32 v17, vcc, s2, v9
	v_addc_co_u32_e32 v18, vcc, v11, v10, vcc
	global_load_dwordx4 v[9:12], v[17:18], off
	ds_read_b128 v[13:16], v0
	s_waitcnt lgkmcnt(0)
	v_mul_f64 v[19:20], v[15:16], -v[3:4]
	v_mul_f64 v[15:16], v[1:2], v[15:16]
	v_fma_f64 v[0:1], v[1:2], v[13:14], v[19:20]
	v_fma_f64 v[2:3], v[3:4], v[13:14], v[15:16]
	s_waitcnt vmcnt(0)
	v_mul_f64 v[21:22], v[7:8], -v[11:12]
	v_mul_f64 v[7:8], v[7:8], v[9:10]
	v_fma_f64 v[9:10], v[9:10], v[5:6], v[21:22]
	v_fma_f64 v[4:5], v[11:12], v[5:6], v[7:8]
	v_add_f64 v[0:1], v[9:10], v[0:1]
	v_add_f64 v[2:3], v[4:5], v[2:3]
	global_store_dwordx4 v[17:18], v[0:3], off
.LBB26_33:
	s_endpgm
	.section	.rodata,"a",@progbits
	.p2align	6, 0x0
	.amdhsa_kernel _ZN9rocsparseL16sddmm_ell_kernelILi512ELi8E21rocsparse_complex_numIdEiiS2_S2_S2_EEv20rocsparse_operation_S3_16rocsparse_order_S4_T3_S5_S5_T2_NS_24const_host_device_scalarIT1_EEPKT4_lPKT5_lS9_PT6_PKS5_21rocsparse_index_base_b
		.amdhsa_group_segment_fixed_size 8192
		.amdhsa_private_segment_fixed_size 0
		.amdhsa_kernarg_size 120
		.amdhsa_user_sgpr_count 6
		.amdhsa_user_sgpr_private_segment_buffer 1
		.amdhsa_user_sgpr_dispatch_ptr 0
		.amdhsa_user_sgpr_queue_ptr 0
		.amdhsa_user_sgpr_kernarg_segment_ptr 1
		.amdhsa_user_sgpr_dispatch_id 0
		.amdhsa_user_sgpr_flat_scratch_init 0
		.amdhsa_user_sgpr_private_segment_size 0
		.amdhsa_uses_dynamic_stack 0
		.amdhsa_system_sgpr_private_segment_wavefront_offset 0
		.amdhsa_system_sgpr_workgroup_id_x 1
		.amdhsa_system_sgpr_workgroup_id_y 0
		.amdhsa_system_sgpr_workgroup_id_z 0
		.amdhsa_system_sgpr_workgroup_info 0
		.amdhsa_system_vgpr_workitem_id 0
		.amdhsa_next_free_vgpr 33
		.amdhsa_next_free_sgpr 22
		.amdhsa_reserve_vcc 1
		.amdhsa_reserve_flat_scratch 0
		.amdhsa_float_round_mode_32 0
		.amdhsa_float_round_mode_16_64 0
		.amdhsa_float_denorm_mode_32 3
		.amdhsa_float_denorm_mode_16_64 3
		.amdhsa_dx10_clamp 1
		.amdhsa_ieee_mode 1
		.amdhsa_fp16_overflow 0
		.amdhsa_exception_fp_ieee_invalid_op 0
		.amdhsa_exception_fp_denorm_src 0
		.amdhsa_exception_fp_ieee_div_zero 0
		.amdhsa_exception_fp_ieee_overflow 0
		.amdhsa_exception_fp_ieee_underflow 0
		.amdhsa_exception_fp_ieee_inexact 0
		.amdhsa_exception_int_div_zero 0
	.end_amdhsa_kernel
	.section	.text._ZN9rocsparseL16sddmm_ell_kernelILi512ELi8E21rocsparse_complex_numIdEiiS2_S2_S2_EEv20rocsparse_operation_S3_16rocsparse_order_S4_T3_S5_S5_T2_NS_24const_host_device_scalarIT1_EEPKT4_lPKT5_lS9_PT6_PKS5_21rocsparse_index_base_b,"axG",@progbits,_ZN9rocsparseL16sddmm_ell_kernelILi512ELi8E21rocsparse_complex_numIdEiiS2_S2_S2_EEv20rocsparse_operation_S3_16rocsparse_order_S4_T3_S5_S5_T2_NS_24const_host_device_scalarIT1_EEPKT4_lPKT5_lS9_PT6_PKS5_21rocsparse_index_base_b,comdat
.Lfunc_end26:
	.size	_ZN9rocsparseL16sddmm_ell_kernelILi512ELi8E21rocsparse_complex_numIdEiiS2_S2_S2_EEv20rocsparse_operation_S3_16rocsparse_order_S4_T3_S5_S5_T2_NS_24const_host_device_scalarIT1_EEPKT4_lPKT5_lS9_PT6_PKS5_21rocsparse_index_base_b, .Lfunc_end26-_ZN9rocsparseL16sddmm_ell_kernelILi512ELi8E21rocsparse_complex_numIdEiiS2_S2_S2_EEv20rocsparse_operation_S3_16rocsparse_order_S4_T3_S5_S5_T2_NS_24const_host_device_scalarIT1_EEPKT4_lPKT5_lS9_PT6_PKS5_21rocsparse_index_base_b
                                        ; -- End function
	.set _ZN9rocsparseL16sddmm_ell_kernelILi512ELi8E21rocsparse_complex_numIdEiiS2_S2_S2_EEv20rocsparse_operation_S3_16rocsparse_order_S4_T3_S5_S5_T2_NS_24const_host_device_scalarIT1_EEPKT4_lPKT5_lS9_PT6_PKS5_21rocsparse_index_base_b.num_vgpr, 33
	.set _ZN9rocsparseL16sddmm_ell_kernelILi512ELi8E21rocsparse_complex_numIdEiiS2_S2_S2_EEv20rocsparse_operation_S3_16rocsparse_order_S4_T3_S5_S5_T2_NS_24const_host_device_scalarIT1_EEPKT4_lPKT5_lS9_PT6_PKS5_21rocsparse_index_base_b.num_agpr, 0
	.set _ZN9rocsparseL16sddmm_ell_kernelILi512ELi8E21rocsparse_complex_numIdEiiS2_S2_S2_EEv20rocsparse_operation_S3_16rocsparse_order_S4_T3_S5_S5_T2_NS_24const_host_device_scalarIT1_EEPKT4_lPKT5_lS9_PT6_PKS5_21rocsparse_index_base_b.numbered_sgpr, 22
	.set _ZN9rocsparseL16sddmm_ell_kernelILi512ELi8E21rocsparse_complex_numIdEiiS2_S2_S2_EEv20rocsparse_operation_S3_16rocsparse_order_S4_T3_S5_S5_T2_NS_24const_host_device_scalarIT1_EEPKT4_lPKT5_lS9_PT6_PKS5_21rocsparse_index_base_b.num_named_barrier, 0
	.set _ZN9rocsparseL16sddmm_ell_kernelILi512ELi8E21rocsparse_complex_numIdEiiS2_S2_S2_EEv20rocsparse_operation_S3_16rocsparse_order_S4_T3_S5_S5_T2_NS_24const_host_device_scalarIT1_EEPKT4_lPKT5_lS9_PT6_PKS5_21rocsparse_index_base_b.private_seg_size, 0
	.set _ZN9rocsparseL16sddmm_ell_kernelILi512ELi8E21rocsparse_complex_numIdEiiS2_S2_S2_EEv20rocsparse_operation_S3_16rocsparse_order_S4_T3_S5_S5_T2_NS_24const_host_device_scalarIT1_EEPKT4_lPKT5_lS9_PT6_PKS5_21rocsparse_index_base_b.uses_vcc, 1
	.set _ZN9rocsparseL16sddmm_ell_kernelILi512ELi8E21rocsparse_complex_numIdEiiS2_S2_S2_EEv20rocsparse_operation_S3_16rocsparse_order_S4_T3_S5_S5_T2_NS_24const_host_device_scalarIT1_EEPKT4_lPKT5_lS9_PT6_PKS5_21rocsparse_index_base_b.uses_flat_scratch, 0
	.set _ZN9rocsparseL16sddmm_ell_kernelILi512ELi8E21rocsparse_complex_numIdEiiS2_S2_S2_EEv20rocsparse_operation_S3_16rocsparse_order_S4_T3_S5_S5_T2_NS_24const_host_device_scalarIT1_EEPKT4_lPKT5_lS9_PT6_PKS5_21rocsparse_index_base_b.has_dyn_sized_stack, 0
	.set _ZN9rocsparseL16sddmm_ell_kernelILi512ELi8E21rocsparse_complex_numIdEiiS2_S2_S2_EEv20rocsparse_operation_S3_16rocsparse_order_S4_T3_S5_S5_T2_NS_24const_host_device_scalarIT1_EEPKT4_lPKT5_lS9_PT6_PKS5_21rocsparse_index_base_b.has_recursion, 0
	.set _ZN9rocsparseL16sddmm_ell_kernelILi512ELi8E21rocsparse_complex_numIdEiiS2_S2_S2_EEv20rocsparse_operation_S3_16rocsparse_order_S4_T3_S5_S5_T2_NS_24const_host_device_scalarIT1_EEPKT4_lPKT5_lS9_PT6_PKS5_21rocsparse_index_base_b.has_indirect_call, 0
	.section	.AMDGPU.csdata,"",@progbits
; Kernel info:
; codeLenInByte = 1428
; TotalNumSgprs: 26
; NumVgprs: 33
; ScratchSize: 0
; MemoryBound: 0
; FloatMode: 240
; IeeeMode: 1
; LDSByteSize: 8192 bytes/workgroup (compile time only)
; SGPRBlocks: 3
; VGPRBlocks: 8
; NumSGPRsForWavesPerEU: 26
; NumVGPRsForWavesPerEU: 33
; Occupancy: 7
; WaveLimiterHint : 0
; COMPUTE_PGM_RSRC2:SCRATCH_EN: 0
; COMPUTE_PGM_RSRC2:USER_SGPR: 6
; COMPUTE_PGM_RSRC2:TRAP_HANDLER: 0
; COMPUTE_PGM_RSRC2:TGID_X_EN: 1
; COMPUTE_PGM_RSRC2:TGID_Y_EN: 0
; COMPUTE_PGM_RSRC2:TGID_Z_EN: 0
; COMPUTE_PGM_RSRC2:TIDIG_COMP_CNT: 0
	.section	.text._ZN9rocsparseL16sddmm_ell_kernelILi512ELi4E21rocsparse_complex_numIdEiiS2_S2_S2_EEv20rocsparse_operation_S3_16rocsparse_order_S4_T3_S5_S5_T2_NS_24const_host_device_scalarIT1_EEPKT4_lPKT5_lS9_PT6_PKS5_21rocsparse_index_base_b,"axG",@progbits,_ZN9rocsparseL16sddmm_ell_kernelILi512ELi4E21rocsparse_complex_numIdEiiS2_S2_S2_EEv20rocsparse_operation_S3_16rocsparse_order_S4_T3_S5_S5_T2_NS_24const_host_device_scalarIT1_EEPKT4_lPKT5_lS9_PT6_PKS5_21rocsparse_index_base_b,comdat
	.globl	_ZN9rocsparseL16sddmm_ell_kernelILi512ELi4E21rocsparse_complex_numIdEiiS2_S2_S2_EEv20rocsparse_operation_S3_16rocsparse_order_S4_T3_S5_S5_T2_NS_24const_host_device_scalarIT1_EEPKT4_lPKT5_lS9_PT6_PKS5_21rocsparse_index_base_b ; -- Begin function _ZN9rocsparseL16sddmm_ell_kernelILi512ELi4E21rocsparse_complex_numIdEiiS2_S2_S2_EEv20rocsparse_operation_S3_16rocsparse_order_S4_T3_S5_S5_T2_NS_24const_host_device_scalarIT1_EEPKT4_lPKT5_lS9_PT6_PKS5_21rocsparse_index_base_b
	.p2align	8
	.type	_ZN9rocsparseL16sddmm_ell_kernelILi512ELi4E21rocsparse_complex_numIdEiiS2_S2_S2_EEv20rocsparse_operation_S3_16rocsparse_order_S4_T3_S5_S5_T2_NS_24const_host_device_scalarIT1_EEPKT4_lPKT5_lS9_PT6_PKS5_21rocsparse_index_base_b,@function
_ZN9rocsparseL16sddmm_ell_kernelILi512ELi4E21rocsparse_complex_numIdEiiS2_S2_S2_EEv20rocsparse_operation_S3_16rocsparse_order_S4_T3_S5_S5_T2_NS_24const_host_device_scalarIT1_EEPKT4_lPKT5_lS9_PT6_PKS5_21rocsparse_index_base_b: ; @_ZN9rocsparseL16sddmm_ell_kernelILi512ELi4E21rocsparse_complex_numIdEiiS2_S2_S2_EEv20rocsparse_operation_S3_16rocsparse_order_S4_T3_S5_S5_T2_NS_24const_host_device_scalarIT1_EEPKT4_lPKT5_lS9_PT6_PKS5_21rocsparse_index_base_b
; %bb.0:
	s_load_dwordx2 s[0:1], s[4:5], 0x20
	s_load_dwordx4 s[8:11], s[4:5], 0x48
	s_load_dwordx2 s[2:3], s[4:5], 0x70
	s_add_u32 s7, s4, 32
	s_addc_u32 s12, s5, 0
	s_add_u32 s13, s4, 0x50
	s_addc_u32 s14, s5, 0
	s_waitcnt lgkmcnt(0)
	s_bitcmp1_b32 s3, 0
	s_cselect_b32 s1, s12, s1
	s_cselect_b32 s0, s7, s0
	v_mov_b32_e32 v1, s0
	v_mov_b32_e32 v2, s1
	flat_load_dwordx4 v[1:4], v[1:2]
	s_cselect_b32 s0, s14, s11
	s_cselect_b32 s1, s13, s10
	v_mov_b32_e32 v5, s1
	v_mov_b32_e32 v6, s0
	flat_load_dwordx4 v[5:8], v[5:6]
	s_waitcnt vmcnt(0) lgkmcnt(0)
	v_cmp_eq_f64_e32 vcc, 0, v[1:2]
	v_cmp_eq_f64_e64 s[0:1], 0, v[3:4]
	s_and_b64 s[12:13], vcc, s[0:1]
	s_mov_b64 s[0:1], -1
	s_and_saveexec_b64 s[10:11], s[12:13]
	s_cbranch_execz .LBB27_2
; %bb.1:
	v_cmp_neq_f64_e32 vcc, 1.0, v[5:6]
	v_cmp_neq_f64_e64 s[0:1], 0, v[7:8]
	s_or_b64 s[0:1], vcc, s[0:1]
	s_orn2_b64 s[0:1], s[0:1], exec
.LBB27_2:
	s_or_b64 exec, exec, s[10:11]
	s_and_saveexec_b64 s[10:11], s[0:1]
	s_cbranch_execz .LBB27_31
; %bb.3:
	s_load_dwordx2 s[10:11], s[4:5], 0x18
	v_lshrrev_b32_e32 v19, 2, v0
	v_lshl_or_b32 v13, s6, 7, v19
	s_waitcnt lgkmcnt(0)
	v_cmp_gt_i32_e32 vcc, s11, v13
	s_and_b64 exec, exec, vcc
	s_cbranch_execz .LBB27_31
; %bb.4:
	s_load_dwordx2 s[0:1], s[4:5], 0x68
	v_ashrrev_i32_e32 v14, 31, v13
	v_lshlrev_b64 v[9:10], 2, v[13:14]
	s_waitcnt lgkmcnt(0)
	v_mov_b32_e32 v11, s1
	v_add_co_u32_e32 v9, vcc, s0, v9
	v_addc_co_u32_e32 v10, vcc, v11, v10, vcc
	global_load_dword v9, v[9:10], off
	s_waitcnt vmcnt(0)
	v_subrev_u32_e32 v9, s2, v9
	v_cmp_lt_i32_e32 vcc, -1, v9
	s_and_b64 exec, exec, vcc
	s_cbranch_execz .LBB27_31
; %bb.5:
	s_load_dwordx4 s[0:3], s[4:5], 0x0
	s_load_dword s11, s[4:5], 0x10
	v_sub_u32_e32 v12, 0, v13
	v_max_i32_e32 v12, v13, v12
	s_load_dwordx2 s[14:15], s[4:5], 0x38
	s_waitcnt lgkmcnt(0)
	s_cmp_eq_u32 s2, 1
	s_cselect_b64 s[6:7], -1, 0
	s_cmpk_eq_i32 s0, 0x6f
	s_cselect_b64 s[12:13], -1, 0
	s_cmpk_lg_i32 s0, 0x6f
	s_cselect_b64 s[16:17], -1, 0
	s_abs_i32 s0, s11
	v_cvt_f32_u32_e32 v10, s0
	s_sub_i32 s11, 0, s0
	s_cmp_lg_u32 s2, 1
	v_rcp_iflag_f32_e32 v10, v10
	v_mul_f32_e32 v10, 0x4f7ffffe, v10
	v_cvt_u32_f32_e32 v10, v10
	v_mul_lo_u32 v11, s11, v10
	v_mul_hi_u32 v11, v10, v11
	v_add_u32_e32 v10, v10, v11
	v_mul_hi_u32 v10, v12, v10
	v_mul_lo_u32 v10, v10, s0
	v_sub_u32_e32 v10, v12, v10
	v_subrev_u32_e32 v11, s0, v10
	v_cmp_le_u32_e32 vcc, s0, v10
	v_cndmask_b32_e32 v10, v10, v11, vcc
	v_subrev_u32_e32 v11, s0, v10
	v_cmp_le_u32_e32 vcc, s0, v10
	v_cndmask_b32_e32 v10, v10, v11, vcc
	v_xor_b32_e32 v10, v10, v14
	v_sub_u32_e32 v10, v10, v14
	v_ashrrev_i32_e32 v11, 31, v10
	s_cbranch_scc0 .LBB27_9
; %bb.6:
	v_mov_b32_e32 v16, v11
	s_andn2_b64 vcc, exec, s[12:13]
	v_mov_b32_e32 v15, v10
	s_cbranch_vccnz .LBB27_8
; %bb.7:
	v_mul_lo_u32 v12, s15, v10
	v_mul_lo_u32 v17, s14, v11
	v_mad_u64_u32 v[15:16], s[18:19], s14, v10, 0
	v_add3_u32 v16, v16, v17, v12
.LBB27_8:
	s_cbranch_execz .LBB27_10
	s_branch .LBB27_13
.LBB27_9:
                                        ; implicit-def: $vgpr15_vgpr16
.LBB27_10:
	s_andn2_b64 vcc, exec, s[16:17]
	s_cbranch_vccnz .LBB27_12
; %bb.11:
	v_mul_lo_u32 v12, s15, v10
	v_mul_lo_u32 v15, s14, v11
	v_mad_u64_u32 v[10:11], s[16:17], s14, v10, 0
	v_add3_u32 v11, v11, v15, v12
.LBB27_12:
	v_mov_b32_e32 v16, v11
	v_mov_b32_e32 v15, v10
.LBB27_13:
	s_cmp_eq_u32 s3, 1
	s_cselect_b64 s[18:19], -1, 0
	s_cmpk_eq_i32 s1, 0x6f
	s_cselect_b64 s[20:21], -1, 0
	s_cmpk_lg_i32 s1, 0x6f
	s_cselect_b64 s[0:1], -1, 0
	s_cmp_lg_u32 s3, 1
	v_mov_b32_e32 v10, 0
	s_cbranch_scc0 .LBB27_17
; %bb.14:
	v_mov_b32_e32 v18, v10
	s_andn2_b64 vcc, exec, s[0:1]
	v_mov_b32_e32 v17, v9
	s_cbranch_vccnz .LBB27_16
; %bb.15:
	v_mad_u64_u32 v[17:18], s[0:1], s8, v9, 0
	v_mov_b32_e32 v11, v18
	v_mad_u64_u32 v[11:12], s[0:1], s9, v9, v[11:12]
	v_mov_b32_e32 v18, v11
.LBB27_16:
	s_cbranch_execz .LBB27_18
	s_branch .LBB27_21
.LBB27_17:
                                        ; implicit-def: $vgpr17_vgpr18
.LBB27_18:
	s_andn2_b64 vcc, exec, s[20:21]
	s_cbranch_vccnz .LBB27_20
; %bb.19:
	v_mad_u64_u32 v[10:11], s[0:1], s8, v9, 0
	v_mad_u64_u32 v[11:12], s[0:1], s9, v9, v[11:12]
	v_mov_b32_e32 v9, v10
	v_mov_b32_e32 v10, v11
.LBB27_20:
	v_mov_b32_e32 v18, v10
	v_mov_b32_e32 v17, v9
.LBB27_21:
	s_load_dwordx2 s[2:3], s[4:5], 0x60
	v_and_b32_e32 v20, 3, v0
	v_mov_b32_e32 v11, 0
	v_mov_b32_e32 v9, 0
	;; [unrolled: 1-line block ×4, first 2 shown]
	v_cmp_gt_i32_e32 vcc, s10, v20
	s_and_saveexec_b64 s[16:17], vcc
	s_cbranch_execz .LBB27_25
; %bb.22:
	s_xor_b64 s[0:1], s[12:13], s[6:7]
	s_and_b64 s[0:1], s[0:1], exec
	s_cselect_b32 s1, 0, s15
	s_cselect_b32 s0, 1, s14
	s_xor_b64 s[6:7], s[20:21], s[18:19]
	s_and_b64 s[6:7], s[6:7], exec
	s_cselect_b32 s6, s8, 1
	v_and_b32_e32 v21, 3, v0
	v_mad_u64_u32 v[9:10], s[12:13], s6, v21, 0
	s_cselect_b32 s7, s9, 0
	v_mov_b32_e32 v22, v20
	v_mov_b32_e32 v0, v10
	v_mad_u64_u32 v[10:11], s[8:9], s7, v21, v[0:1]
	v_lshlrev_b64 v[11:12], 4, v[17:18]
	s_load_dwordx2 s[8:9], s[4:5], 0x30
	s_load_dwordx2 s[12:13], s[4:5], 0x40
	v_lshlrev_b64 v[9:10], 4, v[9:10]
	v_add_co_u32_e32 v0, vcc, v9, v11
	v_addc_co_u32_e32 v11, vcc, v10, v12, vcc
	v_mad_u64_u32 v[9:10], s[4:5], s0, v21, 0
	s_waitcnt lgkmcnt(0)
	v_mov_b32_e32 v12, s13
	v_add_co_u32_e32 v17, vcc, s12, v0
	v_mov_b32_e32 v0, v10
	v_addc_co_u32_e32 v12, vcc, v12, v11, vcc
	v_mad_u64_u32 v[10:11], s[4:5], s1, v21, v[0:1]
	v_add_co_u32_e32 v17, vcc, 8, v17
	v_addc_co_u32_e32 v18, vcc, 0, v12, vcc
	v_lshlrev_b64 v[9:10], 4, v[9:10]
	v_lshlrev_b64 v[11:12], 4, v[15:16]
	s_lshl_b64 s[4:5], s[6:7], 6
	v_add_co_u32_e32 v0, vcc, v9, v11
	v_addc_co_u32_e32 v9, vcc, v10, v12, vcc
	v_mov_b32_e32 v10, s9
	v_add_co_u32_e32 v0, vcc, s8, v0
	v_addc_co_u32_e32 v9, vcc, v10, v9, vcc
	v_add_co_u32_e32 v15, vcc, 8, v0
	v_mov_b32_e32 v11, 0
	v_addc_co_u32_e32 v16, vcc, 0, v9, vcc
	s_lshl_b64 s[6:7], s[0:1], 6
	v_mov_b32_e32 v12, 0
	v_mov_b32_e32 v9, v11
	s_mov_b64 s[8:9], 0
	v_mov_b32_e32 v0, s5
	v_mov_b32_e32 v21, s7
	;; [unrolled: 1-line block ×3, first 2 shown]
.LBB27_23:                              ; =>This Inner Loop Header: Depth=1
	global_load_dwordx4 v[23:26], v[17:18], off offset:-8
	global_load_dwordx4 v[27:30], v[15:16], off offset:-8
	v_add_co_u32_e64 v17, s[0:1], s4, v17
	v_add_u32_e32 v22, 4, v22
	v_addc_co_u32_e64 v18, s[0:1], v18, v0, s[0:1]
	v_add_co_u32_e32 v15, vcc, s6, v15
	v_cmp_le_i32_e64 s[0:1], s10, v22
	s_or_b64 s[8:9], s[0:1], s[8:9]
	v_addc_co_u32_e32 v16, vcc, v16, v21, vcc
	s_waitcnt vmcnt(0)
	v_mul_f64 v[31:32], v[25:26], -v[29:30]
	v_mul_f64 v[25:26], v[25:26], v[27:28]
	v_fma_f64 v[27:28], v[27:28], v[23:24], v[31:32]
	v_fma_f64 v[23:24], v[29:30], v[23:24], v[25:26]
	v_add_f64 v[9:10], v[9:10], v[27:28]
	v_add_f64 v[11:12], v[11:12], v[23:24]
	s_andn2_b64 exec, exec, s[8:9]
	s_cbranch_execnz .LBB27_23
; %bb.24:
	s_or_b64 exec, exec, s[8:9]
.LBB27_25:
	s_or_b64 exec, exec, s[16:17]
	v_lshlrev_b32_e32 v0, 6, v19
	v_lshl_or_b32 v15, v20, 4, v0
	v_cmp_gt_u32_e32 vcc, 2, v20
	ds_write_b128 v15, v[9:12]
	s_waitcnt lgkmcnt(0)
	s_barrier
	s_and_saveexec_b64 s[0:1], vcc
	s_cbranch_execz .LBB27_27
; %bb.26:
	ds_read_b128 v[9:12], v15
	ds_read_b128 v[16:19], v15 offset:32
	s_waitcnt lgkmcnt(0)
	v_add_f64 v[9:10], v[16:17], v[9:10]
	v_add_f64 v[11:12], v[18:19], v[11:12]
	ds_write_b128 v15, v[9:12]
.LBB27_27:
	s_or_b64 exec, exec, s[0:1]
	v_cmp_eq_u32_e32 vcc, 0, v20
	s_waitcnt lgkmcnt(0)
	s_barrier
	s_and_saveexec_b64 s[0:1], vcc
	s_cbranch_execz .LBB27_29
; %bb.28:
	ds_read_b128 v[9:12], v15
	ds_read_b128 v[16:19], v15 offset:16
	s_waitcnt lgkmcnt(0)
	v_add_f64 v[9:10], v[16:17], v[9:10]
	v_add_f64 v[11:12], v[18:19], v[11:12]
	ds_write_b128 v15, v[9:12]
.LBB27_29:
	s_or_b64 exec, exec, s[0:1]
	s_waitcnt lgkmcnt(0)
	s_barrier
	s_and_b64 exec, exec, vcc
	s_cbranch_execz .LBB27_31
; %bb.30:
	v_lshlrev_b64 v[9:10], 4, v[13:14]
	v_mov_b32_e32 v11, s3
	v_add_co_u32_e32 v17, vcc, s2, v9
	v_addc_co_u32_e32 v18, vcc, v11, v10, vcc
	global_load_dwordx4 v[9:12], v[17:18], off
	ds_read_b128 v[13:16], v0
	s_waitcnt lgkmcnt(0)
	v_mul_f64 v[19:20], v[15:16], -v[3:4]
	v_mul_f64 v[15:16], v[1:2], v[15:16]
	v_fma_f64 v[0:1], v[1:2], v[13:14], v[19:20]
	v_fma_f64 v[2:3], v[3:4], v[13:14], v[15:16]
	s_waitcnt vmcnt(0)
	v_mul_f64 v[21:22], v[7:8], -v[11:12]
	v_mul_f64 v[7:8], v[7:8], v[9:10]
	v_fma_f64 v[9:10], v[9:10], v[5:6], v[21:22]
	v_fma_f64 v[4:5], v[11:12], v[5:6], v[7:8]
	v_add_f64 v[0:1], v[9:10], v[0:1]
	v_add_f64 v[2:3], v[4:5], v[2:3]
	global_store_dwordx4 v[17:18], v[0:3], off
.LBB27_31:
	s_endpgm
	.section	.rodata,"a",@progbits
	.p2align	6, 0x0
	.amdhsa_kernel _ZN9rocsparseL16sddmm_ell_kernelILi512ELi4E21rocsparse_complex_numIdEiiS2_S2_S2_EEv20rocsparse_operation_S3_16rocsparse_order_S4_T3_S5_S5_T2_NS_24const_host_device_scalarIT1_EEPKT4_lPKT5_lS9_PT6_PKS5_21rocsparse_index_base_b
		.amdhsa_group_segment_fixed_size 8192
		.amdhsa_private_segment_fixed_size 0
		.amdhsa_kernarg_size 120
		.amdhsa_user_sgpr_count 6
		.amdhsa_user_sgpr_private_segment_buffer 1
		.amdhsa_user_sgpr_dispatch_ptr 0
		.amdhsa_user_sgpr_queue_ptr 0
		.amdhsa_user_sgpr_kernarg_segment_ptr 1
		.amdhsa_user_sgpr_dispatch_id 0
		.amdhsa_user_sgpr_flat_scratch_init 0
		.amdhsa_user_sgpr_private_segment_size 0
		.amdhsa_uses_dynamic_stack 0
		.amdhsa_system_sgpr_private_segment_wavefront_offset 0
		.amdhsa_system_sgpr_workgroup_id_x 1
		.amdhsa_system_sgpr_workgroup_id_y 0
		.amdhsa_system_sgpr_workgroup_id_z 0
		.amdhsa_system_sgpr_workgroup_info 0
		.amdhsa_system_vgpr_workitem_id 0
		.amdhsa_next_free_vgpr 33
		.amdhsa_next_free_sgpr 22
		.amdhsa_reserve_vcc 1
		.amdhsa_reserve_flat_scratch 0
		.amdhsa_float_round_mode_32 0
		.amdhsa_float_round_mode_16_64 0
		.amdhsa_float_denorm_mode_32 3
		.amdhsa_float_denorm_mode_16_64 3
		.amdhsa_dx10_clamp 1
		.amdhsa_ieee_mode 1
		.amdhsa_fp16_overflow 0
		.amdhsa_exception_fp_ieee_invalid_op 0
		.amdhsa_exception_fp_denorm_src 0
		.amdhsa_exception_fp_ieee_div_zero 0
		.amdhsa_exception_fp_ieee_overflow 0
		.amdhsa_exception_fp_ieee_underflow 0
		.amdhsa_exception_fp_ieee_inexact 0
		.amdhsa_exception_int_div_zero 0
	.end_amdhsa_kernel
	.section	.text._ZN9rocsparseL16sddmm_ell_kernelILi512ELi4E21rocsparse_complex_numIdEiiS2_S2_S2_EEv20rocsparse_operation_S3_16rocsparse_order_S4_T3_S5_S5_T2_NS_24const_host_device_scalarIT1_EEPKT4_lPKT5_lS9_PT6_PKS5_21rocsparse_index_base_b,"axG",@progbits,_ZN9rocsparseL16sddmm_ell_kernelILi512ELi4E21rocsparse_complex_numIdEiiS2_S2_S2_EEv20rocsparse_operation_S3_16rocsparse_order_S4_T3_S5_S5_T2_NS_24const_host_device_scalarIT1_EEPKT4_lPKT5_lS9_PT6_PKS5_21rocsparse_index_base_b,comdat
.Lfunc_end27:
	.size	_ZN9rocsparseL16sddmm_ell_kernelILi512ELi4E21rocsparse_complex_numIdEiiS2_S2_S2_EEv20rocsparse_operation_S3_16rocsparse_order_S4_T3_S5_S5_T2_NS_24const_host_device_scalarIT1_EEPKT4_lPKT5_lS9_PT6_PKS5_21rocsparse_index_base_b, .Lfunc_end27-_ZN9rocsparseL16sddmm_ell_kernelILi512ELi4E21rocsparse_complex_numIdEiiS2_S2_S2_EEv20rocsparse_operation_S3_16rocsparse_order_S4_T3_S5_S5_T2_NS_24const_host_device_scalarIT1_EEPKT4_lPKT5_lS9_PT6_PKS5_21rocsparse_index_base_b
                                        ; -- End function
	.set _ZN9rocsparseL16sddmm_ell_kernelILi512ELi4E21rocsparse_complex_numIdEiiS2_S2_S2_EEv20rocsparse_operation_S3_16rocsparse_order_S4_T3_S5_S5_T2_NS_24const_host_device_scalarIT1_EEPKT4_lPKT5_lS9_PT6_PKS5_21rocsparse_index_base_b.num_vgpr, 33
	.set _ZN9rocsparseL16sddmm_ell_kernelILi512ELi4E21rocsparse_complex_numIdEiiS2_S2_S2_EEv20rocsparse_operation_S3_16rocsparse_order_S4_T3_S5_S5_T2_NS_24const_host_device_scalarIT1_EEPKT4_lPKT5_lS9_PT6_PKS5_21rocsparse_index_base_b.num_agpr, 0
	.set _ZN9rocsparseL16sddmm_ell_kernelILi512ELi4E21rocsparse_complex_numIdEiiS2_S2_S2_EEv20rocsparse_operation_S3_16rocsparse_order_S4_T3_S5_S5_T2_NS_24const_host_device_scalarIT1_EEPKT4_lPKT5_lS9_PT6_PKS5_21rocsparse_index_base_b.numbered_sgpr, 22
	.set _ZN9rocsparseL16sddmm_ell_kernelILi512ELi4E21rocsparse_complex_numIdEiiS2_S2_S2_EEv20rocsparse_operation_S3_16rocsparse_order_S4_T3_S5_S5_T2_NS_24const_host_device_scalarIT1_EEPKT4_lPKT5_lS9_PT6_PKS5_21rocsparse_index_base_b.num_named_barrier, 0
	.set _ZN9rocsparseL16sddmm_ell_kernelILi512ELi4E21rocsparse_complex_numIdEiiS2_S2_S2_EEv20rocsparse_operation_S3_16rocsparse_order_S4_T3_S5_S5_T2_NS_24const_host_device_scalarIT1_EEPKT4_lPKT5_lS9_PT6_PKS5_21rocsparse_index_base_b.private_seg_size, 0
	.set _ZN9rocsparseL16sddmm_ell_kernelILi512ELi4E21rocsparse_complex_numIdEiiS2_S2_S2_EEv20rocsparse_operation_S3_16rocsparse_order_S4_T3_S5_S5_T2_NS_24const_host_device_scalarIT1_EEPKT4_lPKT5_lS9_PT6_PKS5_21rocsparse_index_base_b.uses_vcc, 1
	.set _ZN9rocsparseL16sddmm_ell_kernelILi512ELi4E21rocsparse_complex_numIdEiiS2_S2_S2_EEv20rocsparse_operation_S3_16rocsparse_order_S4_T3_S5_S5_T2_NS_24const_host_device_scalarIT1_EEPKT4_lPKT5_lS9_PT6_PKS5_21rocsparse_index_base_b.uses_flat_scratch, 0
	.set _ZN9rocsparseL16sddmm_ell_kernelILi512ELi4E21rocsparse_complex_numIdEiiS2_S2_S2_EEv20rocsparse_operation_S3_16rocsparse_order_S4_T3_S5_S5_T2_NS_24const_host_device_scalarIT1_EEPKT4_lPKT5_lS9_PT6_PKS5_21rocsparse_index_base_b.has_dyn_sized_stack, 0
	.set _ZN9rocsparseL16sddmm_ell_kernelILi512ELi4E21rocsparse_complex_numIdEiiS2_S2_S2_EEv20rocsparse_operation_S3_16rocsparse_order_S4_T3_S5_S5_T2_NS_24const_host_device_scalarIT1_EEPKT4_lPKT5_lS9_PT6_PKS5_21rocsparse_index_base_b.has_recursion, 0
	.set _ZN9rocsparseL16sddmm_ell_kernelILi512ELi4E21rocsparse_complex_numIdEiiS2_S2_S2_EEv20rocsparse_operation_S3_16rocsparse_order_S4_T3_S5_S5_T2_NS_24const_host_device_scalarIT1_EEPKT4_lPKT5_lS9_PT6_PKS5_21rocsparse_index_base_b.has_indirect_call, 0
	.section	.AMDGPU.csdata,"",@progbits
; Kernel info:
; codeLenInByte = 1360
; TotalNumSgprs: 26
; NumVgprs: 33
; ScratchSize: 0
; MemoryBound: 0
; FloatMode: 240
; IeeeMode: 1
; LDSByteSize: 8192 bytes/workgroup (compile time only)
; SGPRBlocks: 3
; VGPRBlocks: 8
; NumSGPRsForWavesPerEU: 26
; NumVGPRsForWavesPerEU: 33
; Occupancy: 7
; WaveLimiterHint : 0
; COMPUTE_PGM_RSRC2:SCRATCH_EN: 0
; COMPUTE_PGM_RSRC2:USER_SGPR: 6
; COMPUTE_PGM_RSRC2:TRAP_HANDLER: 0
; COMPUTE_PGM_RSRC2:TGID_X_EN: 1
; COMPUTE_PGM_RSRC2:TGID_Y_EN: 0
; COMPUTE_PGM_RSRC2:TGID_Z_EN: 0
; COMPUTE_PGM_RSRC2:TIDIG_COMP_CNT: 0
	.section	.text._ZN9rocsparseL16sddmm_ell_kernelILi512ELi2E21rocsparse_complex_numIdEiiS2_S2_S2_EEv20rocsparse_operation_S3_16rocsparse_order_S4_T3_S5_S5_T2_NS_24const_host_device_scalarIT1_EEPKT4_lPKT5_lS9_PT6_PKS5_21rocsparse_index_base_b,"axG",@progbits,_ZN9rocsparseL16sddmm_ell_kernelILi512ELi2E21rocsparse_complex_numIdEiiS2_S2_S2_EEv20rocsparse_operation_S3_16rocsparse_order_S4_T3_S5_S5_T2_NS_24const_host_device_scalarIT1_EEPKT4_lPKT5_lS9_PT6_PKS5_21rocsparse_index_base_b,comdat
	.globl	_ZN9rocsparseL16sddmm_ell_kernelILi512ELi2E21rocsparse_complex_numIdEiiS2_S2_S2_EEv20rocsparse_operation_S3_16rocsparse_order_S4_T3_S5_S5_T2_NS_24const_host_device_scalarIT1_EEPKT4_lPKT5_lS9_PT6_PKS5_21rocsparse_index_base_b ; -- Begin function _ZN9rocsparseL16sddmm_ell_kernelILi512ELi2E21rocsparse_complex_numIdEiiS2_S2_S2_EEv20rocsparse_operation_S3_16rocsparse_order_S4_T3_S5_S5_T2_NS_24const_host_device_scalarIT1_EEPKT4_lPKT5_lS9_PT6_PKS5_21rocsparse_index_base_b
	.p2align	8
	.type	_ZN9rocsparseL16sddmm_ell_kernelILi512ELi2E21rocsparse_complex_numIdEiiS2_S2_S2_EEv20rocsparse_operation_S3_16rocsparse_order_S4_T3_S5_S5_T2_NS_24const_host_device_scalarIT1_EEPKT4_lPKT5_lS9_PT6_PKS5_21rocsparse_index_base_b,@function
_ZN9rocsparseL16sddmm_ell_kernelILi512ELi2E21rocsparse_complex_numIdEiiS2_S2_S2_EEv20rocsparse_operation_S3_16rocsparse_order_S4_T3_S5_S5_T2_NS_24const_host_device_scalarIT1_EEPKT4_lPKT5_lS9_PT6_PKS5_21rocsparse_index_base_b: ; @_ZN9rocsparseL16sddmm_ell_kernelILi512ELi2E21rocsparse_complex_numIdEiiS2_S2_S2_EEv20rocsparse_operation_S3_16rocsparse_order_S4_T3_S5_S5_T2_NS_24const_host_device_scalarIT1_EEPKT4_lPKT5_lS9_PT6_PKS5_21rocsparse_index_base_b
; %bb.0:
	s_load_dwordx2 s[0:1], s[4:5], 0x20
	s_load_dwordx4 s[8:11], s[4:5], 0x48
	s_load_dwordx2 s[2:3], s[4:5], 0x70
	s_add_u32 s7, s4, 32
	s_addc_u32 s12, s5, 0
	s_add_u32 s13, s4, 0x50
	s_addc_u32 s14, s5, 0
	s_waitcnt lgkmcnt(0)
	s_bitcmp1_b32 s3, 0
	s_cselect_b32 s1, s12, s1
	s_cselect_b32 s0, s7, s0
	v_mov_b32_e32 v1, s0
	v_mov_b32_e32 v2, s1
	flat_load_dwordx4 v[1:4], v[1:2]
	s_cselect_b32 s0, s14, s11
	s_cselect_b32 s1, s13, s10
	v_mov_b32_e32 v5, s1
	v_mov_b32_e32 v6, s0
	flat_load_dwordx4 v[5:8], v[5:6]
	s_waitcnt vmcnt(0) lgkmcnt(0)
	v_cmp_eq_f64_e32 vcc, 0, v[1:2]
	v_cmp_eq_f64_e64 s[0:1], 0, v[3:4]
	s_and_b64 s[12:13], vcc, s[0:1]
	s_mov_b64 s[0:1], -1
	s_and_saveexec_b64 s[10:11], s[12:13]
	s_cbranch_execz .LBB28_2
; %bb.1:
	v_cmp_neq_f64_e32 vcc, 1.0, v[5:6]
	v_cmp_neq_f64_e64 s[0:1], 0, v[7:8]
	s_or_b64 s[0:1], vcc, s[0:1]
	s_orn2_b64 s[0:1], s[0:1], exec
.LBB28_2:
	s_or_b64 exec, exec, s[10:11]
	s_and_saveexec_b64 s[10:11], s[0:1]
	s_cbranch_execz .LBB28_29
; %bb.3:
	s_load_dwordx2 s[10:11], s[4:5], 0x18
	v_lshrrev_b32_e32 v19, 1, v0
	v_lshl_or_b32 v13, s6, 8, v19
	s_waitcnt lgkmcnt(0)
	v_cmp_gt_i32_e32 vcc, s11, v13
	s_and_b64 exec, exec, vcc
	s_cbranch_execz .LBB28_29
; %bb.4:
	s_load_dwordx2 s[0:1], s[4:5], 0x68
	v_ashrrev_i32_e32 v14, 31, v13
	v_lshlrev_b64 v[9:10], 2, v[13:14]
	s_waitcnt lgkmcnt(0)
	v_mov_b32_e32 v11, s1
	v_add_co_u32_e32 v9, vcc, s0, v9
	v_addc_co_u32_e32 v10, vcc, v11, v10, vcc
	global_load_dword v9, v[9:10], off
	s_waitcnt vmcnt(0)
	v_subrev_u32_e32 v9, s2, v9
	v_cmp_lt_i32_e32 vcc, -1, v9
	s_and_b64 exec, exec, vcc
	s_cbranch_execz .LBB28_29
; %bb.5:
	s_load_dwordx4 s[0:3], s[4:5], 0x0
	s_load_dword s11, s[4:5], 0x10
	v_sub_u32_e32 v12, 0, v13
	v_max_i32_e32 v12, v13, v12
	s_load_dwordx2 s[14:15], s[4:5], 0x38
	s_waitcnt lgkmcnt(0)
	s_cmp_eq_u32 s2, 1
	s_cselect_b64 s[6:7], -1, 0
	s_cmpk_eq_i32 s0, 0x6f
	s_cselect_b64 s[12:13], -1, 0
	s_cmpk_lg_i32 s0, 0x6f
	s_cselect_b64 s[16:17], -1, 0
	s_abs_i32 s0, s11
	v_cvt_f32_u32_e32 v10, s0
	s_sub_i32 s11, 0, s0
	s_cmp_lg_u32 s2, 1
	v_rcp_iflag_f32_e32 v10, v10
	v_mul_f32_e32 v10, 0x4f7ffffe, v10
	v_cvt_u32_f32_e32 v10, v10
	v_mul_lo_u32 v11, s11, v10
	v_mul_hi_u32 v11, v10, v11
	v_add_u32_e32 v10, v10, v11
	v_mul_hi_u32 v10, v12, v10
	v_mul_lo_u32 v10, v10, s0
	v_sub_u32_e32 v10, v12, v10
	v_subrev_u32_e32 v11, s0, v10
	v_cmp_le_u32_e32 vcc, s0, v10
	v_cndmask_b32_e32 v10, v10, v11, vcc
	v_subrev_u32_e32 v11, s0, v10
	v_cmp_le_u32_e32 vcc, s0, v10
	v_cndmask_b32_e32 v10, v10, v11, vcc
	v_xor_b32_e32 v10, v10, v14
	v_sub_u32_e32 v10, v10, v14
	v_ashrrev_i32_e32 v11, 31, v10
	s_cbranch_scc0 .LBB28_9
; %bb.6:
	v_mov_b32_e32 v16, v11
	s_andn2_b64 vcc, exec, s[12:13]
	v_mov_b32_e32 v15, v10
	s_cbranch_vccnz .LBB28_8
; %bb.7:
	v_mul_lo_u32 v12, s15, v10
	v_mul_lo_u32 v17, s14, v11
	v_mad_u64_u32 v[15:16], s[18:19], s14, v10, 0
	v_add3_u32 v16, v16, v17, v12
.LBB28_8:
	s_cbranch_execz .LBB28_10
	s_branch .LBB28_13
.LBB28_9:
                                        ; implicit-def: $vgpr15_vgpr16
.LBB28_10:
	s_andn2_b64 vcc, exec, s[16:17]
	s_cbranch_vccnz .LBB28_12
; %bb.11:
	v_mul_lo_u32 v12, s15, v10
	v_mul_lo_u32 v15, s14, v11
	v_mad_u64_u32 v[10:11], s[16:17], s14, v10, 0
	v_add3_u32 v11, v11, v15, v12
.LBB28_12:
	v_mov_b32_e32 v16, v11
	v_mov_b32_e32 v15, v10
.LBB28_13:
	s_cmp_eq_u32 s3, 1
	s_cselect_b64 s[18:19], -1, 0
	s_cmpk_eq_i32 s1, 0x6f
	s_cselect_b64 s[20:21], -1, 0
	s_cmpk_lg_i32 s1, 0x6f
	s_cselect_b64 s[0:1], -1, 0
	s_cmp_lg_u32 s3, 1
	v_mov_b32_e32 v10, 0
	s_cbranch_scc0 .LBB28_17
; %bb.14:
	v_mov_b32_e32 v18, v10
	s_andn2_b64 vcc, exec, s[0:1]
	v_mov_b32_e32 v17, v9
	s_cbranch_vccnz .LBB28_16
; %bb.15:
	v_mad_u64_u32 v[17:18], s[0:1], s8, v9, 0
	v_mov_b32_e32 v11, v18
	v_mad_u64_u32 v[11:12], s[0:1], s9, v9, v[11:12]
	v_mov_b32_e32 v18, v11
.LBB28_16:
	s_cbranch_execz .LBB28_18
	s_branch .LBB28_21
.LBB28_17:
                                        ; implicit-def: $vgpr17_vgpr18
.LBB28_18:
	s_andn2_b64 vcc, exec, s[20:21]
	s_cbranch_vccnz .LBB28_20
; %bb.19:
	v_mad_u64_u32 v[10:11], s[0:1], s8, v9, 0
	v_mad_u64_u32 v[11:12], s[0:1], s9, v9, v[11:12]
	v_mov_b32_e32 v9, v10
	v_mov_b32_e32 v10, v11
.LBB28_20:
	v_mov_b32_e32 v18, v10
	v_mov_b32_e32 v17, v9
.LBB28_21:
	s_load_dwordx2 s[2:3], s[4:5], 0x60
	v_and_b32_e32 v20, 1, v0
	v_mov_b32_e32 v11, 0
	v_mov_b32_e32 v9, 0
	v_mov_b32_e32 v12, 0
	v_mov_b32_e32 v10, 0
	v_cmp_gt_i32_e32 vcc, s10, v20
	s_and_saveexec_b64 s[16:17], vcc
	s_cbranch_execz .LBB28_25
; %bb.22:
	s_xor_b64 s[0:1], s[12:13], s[6:7]
	s_and_b64 s[0:1], s[0:1], exec
	s_cselect_b32 s1, 0, s15
	s_cselect_b32 s0, 1, s14
	s_xor_b64 s[6:7], s[20:21], s[18:19]
	s_and_b64 s[6:7], s[6:7], exec
	s_cselect_b32 s7, s9, 0
	s_cselect_b32 s6, s8, 1
	v_and_b32_e32 v0, 1, v0
	v_mul_lo_u32 v10, s7, v0
	v_mul_lo_u32 v9, s6, v0
	s_load_dwordx2 s[8:9], s[4:5], 0x30
	s_load_dwordx2 s[12:13], s[4:5], 0x40
	v_lshlrev_b64 v[11:12], 4, v[17:18]
	s_lshl_b64 s[4:5], s[6:7], 5
	v_lshlrev_b64 v[9:10], 4, v[9:10]
	s_lshl_b64 s[6:7], s[0:1], 5
	v_add_co_u32_e32 v9, vcc, v9, v11
	v_addc_co_u32_e32 v10, vcc, v10, v12, vcc
	s_waitcnt lgkmcnt(0)
	v_mov_b32_e32 v11, s13
	v_add_co_u32_e32 v12, vcc, s12, v9
	v_addc_co_u32_e32 v11, vcc, v11, v10, vcc
	v_mul_lo_u32 v10, s1, v0
	v_mul_lo_u32 v9, s0, v0
	v_add_co_u32_e32 v17, vcc, 8, v12
	v_addc_co_u32_e32 v18, vcc, 0, v11, vcc
	v_lshlrev_b64 v[9:10], 4, v[9:10]
	v_lshlrev_b64 v[11:12], 4, v[15:16]
	v_mov_b32_e32 v21, s7
	v_add_co_u32_e32 v0, vcc, v9, v11
	v_addc_co_u32_e32 v9, vcc, v10, v12, vcc
	v_mov_b32_e32 v10, s9
	v_add_co_u32_e32 v0, vcc, s8, v0
	v_addc_co_u32_e32 v9, vcc, v10, v9, vcc
	v_add_co_u32_e32 v15, vcc, 8, v0
	v_mov_b32_e32 v11, 0
	v_addc_co_u32_e32 v16, vcc, 0, v9, vcc
	v_mov_b32_e32 v12, 0
	v_mov_b32_e32 v9, v11
	s_mov_b64 s[8:9], 0
	v_mov_b32_e32 v0, s5
	v_mov_b32_e32 v22, v20
	v_mov_b32_e32 v10, v12
.LBB28_23:                              ; =>This Inner Loop Header: Depth=1
	global_load_dwordx4 v[23:26], v[17:18], off offset:-8
	global_load_dwordx4 v[27:30], v[15:16], off offset:-8
	v_add_co_u32_e64 v17, s[0:1], s4, v17
	v_add_u32_e32 v22, 2, v22
	v_addc_co_u32_e64 v18, s[0:1], v18, v0, s[0:1]
	v_add_co_u32_e32 v15, vcc, s6, v15
	v_cmp_le_i32_e64 s[0:1], s10, v22
	s_or_b64 s[8:9], s[0:1], s[8:9]
	v_addc_co_u32_e32 v16, vcc, v16, v21, vcc
	s_waitcnt vmcnt(0)
	v_mul_f64 v[31:32], v[25:26], -v[29:30]
	v_mul_f64 v[25:26], v[25:26], v[27:28]
	v_fma_f64 v[27:28], v[27:28], v[23:24], v[31:32]
	v_fma_f64 v[23:24], v[29:30], v[23:24], v[25:26]
	v_add_f64 v[9:10], v[9:10], v[27:28]
	v_add_f64 v[11:12], v[11:12], v[23:24]
	s_andn2_b64 exec, exec, s[8:9]
	s_cbranch_execnz .LBB28_23
; %bb.24:
	s_or_b64 exec, exec, s[8:9]
.LBB28_25:
	s_or_b64 exec, exec, s[16:17]
	v_lshlrev_b32_e32 v0, 5, v19
	v_lshl_or_b32 v15, v20, 4, v0
	v_cmp_eq_u32_e32 vcc, 0, v20
	ds_write_b128 v15, v[9:12]
	s_waitcnt lgkmcnt(0)
	s_barrier
	s_and_saveexec_b64 s[0:1], vcc
	s_cbranch_execz .LBB28_27
; %bb.26:
	ds_read_b128 v[9:12], v0 offset:16
	ds_read_b128 v[16:19], v15
	s_waitcnt lgkmcnt(0)
	v_add_f64 v[9:10], v[9:10], v[16:17]
	v_add_f64 v[11:12], v[11:12], v[18:19]
	ds_write_b128 v15, v[9:12]
.LBB28_27:
	s_or_b64 exec, exec, s[0:1]
	s_waitcnt lgkmcnt(0)
	s_barrier
	s_and_b64 exec, exec, vcc
	s_cbranch_execz .LBB28_29
; %bb.28:
	v_lshlrev_b64 v[9:10], 4, v[13:14]
	v_mov_b32_e32 v11, s3
	v_add_co_u32_e32 v17, vcc, s2, v9
	v_addc_co_u32_e32 v18, vcc, v11, v10, vcc
	global_load_dwordx4 v[9:12], v[17:18], off
	ds_read_b128 v[13:16], v0
	s_waitcnt lgkmcnt(0)
	v_mul_f64 v[19:20], v[15:16], -v[3:4]
	v_mul_f64 v[15:16], v[1:2], v[15:16]
	v_fma_f64 v[0:1], v[1:2], v[13:14], v[19:20]
	v_fma_f64 v[2:3], v[3:4], v[13:14], v[15:16]
	s_waitcnt vmcnt(0)
	v_mul_f64 v[21:22], v[7:8], -v[11:12]
	v_mul_f64 v[7:8], v[7:8], v[9:10]
	v_fma_f64 v[9:10], v[9:10], v[5:6], v[21:22]
	v_fma_f64 v[4:5], v[11:12], v[5:6], v[7:8]
	v_add_f64 v[0:1], v[9:10], v[0:1]
	v_add_f64 v[2:3], v[4:5], v[2:3]
	global_store_dwordx4 v[17:18], v[0:3], off
.LBB28_29:
	s_endpgm
	.section	.rodata,"a",@progbits
	.p2align	6, 0x0
	.amdhsa_kernel _ZN9rocsparseL16sddmm_ell_kernelILi512ELi2E21rocsparse_complex_numIdEiiS2_S2_S2_EEv20rocsparse_operation_S3_16rocsparse_order_S4_T3_S5_S5_T2_NS_24const_host_device_scalarIT1_EEPKT4_lPKT5_lS9_PT6_PKS5_21rocsparse_index_base_b
		.amdhsa_group_segment_fixed_size 8192
		.amdhsa_private_segment_fixed_size 0
		.amdhsa_kernarg_size 120
		.amdhsa_user_sgpr_count 6
		.amdhsa_user_sgpr_private_segment_buffer 1
		.amdhsa_user_sgpr_dispatch_ptr 0
		.amdhsa_user_sgpr_queue_ptr 0
		.amdhsa_user_sgpr_kernarg_segment_ptr 1
		.amdhsa_user_sgpr_dispatch_id 0
		.amdhsa_user_sgpr_flat_scratch_init 0
		.amdhsa_user_sgpr_private_segment_size 0
		.amdhsa_uses_dynamic_stack 0
		.amdhsa_system_sgpr_private_segment_wavefront_offset 0
		.amdhsa_system_sgpr_workgroup_id_x 1
		.amdhsa_system_sgpr_workgroup_id_y 0
		.amdhsa_system_sgpr_workgroup_id_z 0
		.amdhsa_system_sgpr_workgroup_info 0
		.amdhsa_system_vgpr_workitem_id 0
		.amdhsa_next_free_vgpr 33
		.amdhsa_next_free_sgpr 22
		.amdhsa_reserve_vcc 1
		.amdhsa_reserve_flat_scratch 0
		.amdhsa_float_round_mode_32 0
		.amdhsa_float_round_mode_16_64 0
		.amdhsa_float_denorm_mode_32 3
		.amdhsa_float_denorm_mode_16_64 3
		.amdhsa_dx10_clamp 1
		.amdhsa_ieee_mode 1
		.amdhsa_fp16_overflow 0
		.amdhsa_exception_fp_ieee_invalid_op 0
		.amdhsa_exception_fp_denorm_src 0
		.amdhsa_exception_fp_ieee_div_zero 0
		.amdhsa_exception_fp_ieee_overflow 0
		.amdhsa_exception_fp_ieee_underflow 0
		.amdhsa_exception_fp_ieee_inexact 0
		.amdhsa_exception_int_div_zero 0
	.end_amdhsa_kernel
	.section	.text._ZN9rocsparseL16sddmm_ell_kernelILi512ELi2E21rocsparse_complex_numIdEiiS2_S2_S2_EEv20rocsparse_operation_S3_16rocsparse_order_S4_T3_S5_S5_T2_NS_24const_host_device_scalarIT1_EEPKT4_lPKT5_lS9_PT6_PKS5_21rocsparse_index_base_b,"axG",@progbits,_ZN9rocsparseL16sddmm_ell_kernelILi512ELi2E21rocsparse_complex_numIdEiiS2_S2_S2_EEv20rocsparse_operation_S3_16rocsparse_order_S4_T3_S5_S5_T2_NS_24const_host_device_scalarIT1_EEPKT4_lPKT5_lS9_PT6_PKS5_21rocsparse_index_base_b,comdat
.Lfunc_end28:
	.size	_ZN9rocsparseL16sddmm_ell_kernelILi512ELi2E21rocsparse_complex_numIdEiiS2_S2_S2_EEv20rocsparse_operation_S3_16rocsparse_order_S4_T3_S5_S5_T2_NS_24const_host_device_scalarIT1_EEPKT4_lPKT5_lS9_PT6_PKS5_21rocsparse_index_base_b, .Lfunc_end28-_ZN9rocsparseL16sddmm_ell_kernelILi512ELi2E21rocsparse_complex_numIdEiiS2_S2_S2_EEv20rocsparse_operation_S3_16rocsparse_order_S4_T3_S5_S5_T2_NS_24const_host_device_scalarIT1_EEPKT4_lPKT5_lS9_PT6_PKS5_21rocsparse_index_base_b
                                        ; -- End function
	.set _ZN9rocsparseL16sddmm_ell_kernelILi512ELi2E21rocsparse_complex_numIdEiiS2_S2_S2_EEv20rocsparse_operation_S3_16rocsparse_order_S4_T3_S5_S5_T2_NS_24const_host_device_scalarIT1_EEPKT4_lPKT5_lS9_PT6_PKS5_21rocsparse_index_base_b.num_vgpr, 33
	.set _ZN9rocsparseL16sddmm_ell_kernelILi512ELi2E21rocsparse_complex_numIdEiiS2_S2_S2_EEv20rocsparse_operation_S3_16rocsparse_order_S4_T3_S5_S5_T2_NS_24const_host_device_scalarIT1_EEPKT4_lPKT5_lS9_PT6_PKS5_21rocsparse_index_base_b.num_agpr, 0
	.set _ZN9rocsparseL16sddmm_ell_kernelILi512ELi2E21rocsparse_complex_numIdEiiS2_S2_S2_EEv20rocsparse_operation_S3_16rocsparse_order_S4_T3_S5_S5_T2_NS_24const_host_device_scalarIT1_EEPKT4_lPKT5_lS9_PT6_PKS5_21rocsparse_index_base_b.numbered_sgpr, 22
	.set _ZN9rocsparseL16sddmm_ell_kernelILi512ELi2E21rocsparse_complex_numIdEiiS2_S2_S2_EEv20rocsparse_operation_S3_16rocsparse_order_S4_T3_S5_S5_T2_NS_24const_host_device_scalarIT1_EEPKT4_lPKT5_lS9_PT6_PKS5_21rocsparse_index_base_b.num_named_barrier, 0
	.set _ZN9rocsparseL16sddmm_ell_kernelILi512ELi2E21rocsparse_complex_numIdEiiS2_S2_S2_EEv20rocsparse_operation_S3_16rocsparse_order_S4_T3_S5_S5_T2_NS_24const_host_device_scalarIT1_EEPKT4_lPKT5_lS9_PT6_PKS5_21rocsparse_index_base_b.private_seg_size, 0
	.set _ZN9rocsparseL16sddmm_ell_kernelILi512ELi2E21rocsparse_complex_numIdEiiS2_S2_S2_EEv20rocsparse_operation_S3_16rocsparse_order_S4_T3_S5_S5_T2_NS_24const_host_device_scalarIT1_EEPKT4_lPKT5_lS9_PT6_PKS5_21rocsparse_index_base_b.uses_vcc, 1
	.set _ZN9rocsparseL16sddmm_ell_kernelILi512ELi2E21rocsparse_complex_numIdEiiS2_S2_S2_EEv20rocsparse_operation_S3_16rocsparse_order_S4_T3_S5_S5_T2_NS_24const_host_device_scalarIT1_EEPKT4_lPKT5_lS9_PT6_PKS5_21rocsparse_index_base_b.uses_flat_scratch, 0
	.set _ZN9rocsparseL16sddmm_ell_kernelILi512ELi2E21rocsparse_complex_numIdEiiS2_S2_S2_EEv20rocsparse_operation_S3_16rocsparse_order_S4_T3_S5_S5_T2_NS_24const_host_device_scalarIT1_EEPKT4_lPKT5_lS9_PT6_PKS5_21rocsparse_index_base_b.has_dyn_sized_stack, 0
	.set _ZN9rocsparseL16sddmm_ell_kernelILi512ELi2E21rocsparse_complex_numIdEiiS2_S2_S2_EEv20rocsparse_operation_S3_16rocsparse_order_S4_T3_S5_S5_T2_NS_24const_host_device_scalarIT1_EEPKT4_lPKT5_lS9_PT6_PKS5_21rocsparse_index_base_b.has_recursion, 0
	.set _ZN9rocsparseL16sddmm_ell_kernelILi512ELi2E21rocsparse_complex_numIdEiiS2_S2_S2_EEv20rocsparse_operation_S3_16rocsparse_order_S4_T3_S5_S5_T2_NS_24const_host_device_scalarIT1_EEPKT4_lPKT5_lS9_PT6_PKS5_21rocsparse_index_base_b.has_indirect_call, 0
	.section	.AMDGPU.csdata,"",@progbits
; Kernel info:
; codeLenInByte = 1284
; TotalNumSgprs: 26
; NumVgprs: 33
; ScratchSize: 0
; MemoryBound: 0
; FloatMode: 240
; IeeeMode: 1
; LDSByteSize: 8192 bytes/workgroup (compile time only)
; SGPRBlocks: 3
; VGPRBlocks: 8
; NumSGPRsForWavesPerEU: 26
; NumVGPRsForWavesPerEU: 33
; Occupancy: 7
; WaveLimiterHint : 0
; COMPUTE_PGM_RSRC2:SCRATCH_EN: 0
; COMPUTE_PGM_RSRC2:USER_SGPR: 6
; COMPUTE_PGM_RSRC2:TRAP_HANDLER: 0
; COMPUTE_PGM_RSRC2:TGID_X_EN: 1
; COMPUTE_PGM_RSRC2:TGID_Y_EN: 0
; COMPUTE_PGM_RSRC2:TGID_Z_EN: 0
; COMPUTE_PGM_RSRC2:TIDIG_COMP_CNT: 0
	.section	.text._ZN9rocsparseL16sddmm_ell_kernelILi512ELi1E21rocsparse_complex_numIdEiiS2_S2_S2_EEv20rocsparse_operation_S3_16rocsparse_order_S4_T3_S5_S5_T2_NS_24const_host_device_scalarIT1_EEPKT4_lPKT5_lS9_PT6_PKS5_21rocsparse_index_base_b,"axG",@progbits,_ZN9rocsparseL16sddmm_ell_kernelILi512ELi1E21rocsparse_complex_numIdEiiS2_S2_S2_EEv20rocsparse_operation_S3_16rocsparse_order_S4_T3_S5_S5_T2_NS_24const_host_device_scalarIT1_EEPKT4_lPKT5_lS9_PT6_PKS5_21rocsparse_index_base_b,comdat
	.globl	_ZN9rocsparseL16sddmm_ell_kernelILi512ELi1E21rocsparse_complex_numIdEiiS2_S2_S2_EEv20rocsparse_operation_S3_16rocsparse_order_S4_T3_S5_S5_T2_NS_24const_host_device_scalarIT1_EEPKT4_lPKT5_lS9_PT6_PKS5_21rocsparse_index_base_b ; -- Begin function _ZN9rocsparseL16sddmm_ell_kernelILi512ELi1E21rocsparse_complex_numIdEiiS2_S2_S2_EEv20rocsparse_operation_S3_16rocsparse_order_S4_T3_S5_S5_T2_NS_24const_host_device_scalarIT1_EEPKT4_lPKT5_lS9_PT6_PKS5_21rocsparse_index_base_b
	.p2align	8
	.type	_ZN9rocsparseL16sddmm_ell_kernelILi512ELi1E21rocsparse_complex_numIdEiiS2_S2_S2_EEv20rocsparse_operation_S3_16rocsparse_order_S4_T3_S5_S5_T2_NS_24const_host_device_scalarIT1_EEPKT4_lPKT5_lS9_PT6_PKS5_21rocsparse_index_base_b,@function
_ZN9rocsparseL16sddmm_ell_kernelILi512ELi1E21rocsparse_complex_numIdEiiS2_S2_S2_EEv20rocsparse_operation_S3_16rocsparse_order_S4_T3_S5_S5_T2_NS_24const_host_device_scalarIT1_EEPKT4_lPKT5_lS9_PT6_PKS5_21rocsparse_index_base_b: ; @_ZN9rocsparseL16sddmm_ell_kernelILi512ELi1E21rocsparse_complex_numIdEiiS2_S2_S2_EEv20rocsparse_operation_S3_16rocsparse_order_S4_T3_S5_S5_T2_NS_24const_host_device_scalarIT1_EEPKT4_lPKT5_lS9_PT6_PKS5_21rocsparse_index_base_b
; %bb.0:
	s_load_dwordx2 s[0:1], s[4:5], 0x20
	s_load_dwordx4 s[8:11], s[4:5], 0x48
	s_load_dwordx2 s[2:3], s[4:5], 0x70
	s_add_u32 s7, s4, 32
	s_addc_u32 s12, s5, 0
	s_add_u32 s13, s4, 0x50
	s_addc_u32 s14, s5, 0
	s_waitcnt lgkmcnt(0)
	s_bitcmp1_b32 s3, 0
	s_cselect_b32 s1, s12, s1
	s_cselect_b32 s0, s7, s0
	v_mov_b32_e32 v1, s0
	v_mov_b32_e32 v2, s1
	flat_load_dwordx4 v[1:4], v[1:2]
	s_cselect_b32 s0, s14, s11
	s_cselect_b32 s1, s13, s10
	v_mov_b32_e32 v5, s1
	v_mov_b32_e32 v6, s0
	flat_load_dwordx4 v[5:8], v[5:6]
	s_waitcnt vmcnt(0) lgkmcnt(0)
	v_cmp_eq_f64_e32 vcc, 0, v[1:2]
	v_cmp_eq_f64_e64 s[0:1], 0, v[3:4]
	s_and_b64 s[12:13], vcc, s[0:1]
	s_mov_b64 s[0:1], -1
	s_and_saveexec_b64 s[10:11], s[12:13]
	s_cbranch_execz .LBB29_2
; %bb.1:
	v_cmp_neq_f64_e32 vcc, 1.0, v[5:6]
	v_cmp_neq_f64_e64 s[0:1], 0, v[7:8]
	s_or_b64 s[0:1], vcc, s[0:1]
	s_orn2_b64 s[0:1], s[0:1], exec
.LBB29_2:
	s_or_b64 exec, exec, s[10:11]
	s_and_saveexec_b64 s[10:11], s[0:1]
	s_cbranch_execz .LBB29_26
; %bb.3:
	s_load_dwordx2 s[10:11], s[4:5], 0x18
	v_lshl_or_b32 v13, s6, 9, v0
	s_waitcnt lgkmcnt(0)
	v_cmp_gt_i32_e32 vcc, s11, v13
	s_and_b64 exec, exec, vcc
	s_cbranch_execz .LBB29_26
; %bb.4:
	s_load_dwordx2 s[0:1], s[4:5], 0x68
	v_ashrrev_i32_e32 v14, 31, v13
	v_lshlrev_b64 v[9:10], 2, v[13:14]
	s_waitcnt lgkmcnt(0)
	v_mov_b32_e32 v11, s1
	v_add_co_u32_e32 v9, vcc, s0, v9
	v_addc_co_u32_e32 v10, vcc, v11, v10, vcc
	global_load_dword v9, v[9:10], off
	s_waitcnt vmcnt(0)
	v_subrev_u32_e32 v9, s2, v9
	v_cmp_lt_i32_e32 vcc, -1, v9
	s_and_b64 exec, exec, vcc
	s_cbranch_execz .LBB29_26
; %bb.5:
	s_load_dwordx4 s[0:3], s[4:5], 0x0
	s_load_dword s11, s[4:5], 0x10
	v_sub_u32_e32 v12, 0, v13
	v_max_i32_e32 v12, v13, v12
	s_load_dwordx2 s[14:15], s[4:5], 0x38
	s_waitcnt lgkmcnt(0)
	s_cmp_eq_u32 s2, 1
	s_cselect_b64 s[6:7], -1, 0
	s_cmpk_eq_i32 s0, 0x6f
	s_cselect_b64 s[12:13], -1, 0
	s_cmpk_lg_i32 s0, 0x6f
	s_cselect_b64 s[16:17], -1, 0
	s_abs_i32 s0, s11
	v_cvt_f32_u32_e32 v10, s0
	s_sub_i32 s11, 0, s0
	s_cmp_lg_u32 s2, 1
	v_rcp_iflag_f32_e32 v10, v10
	v_mul_f32_e32 v10, 0x4f7ffffe, v10
	v_cvt_u32_f32_e32 v10, v10
	v_mul_lo_u32 v11, s11, v10
	v_mul_hi_u32 v11, v10, v11
	v_add_u32_e32 v10, v10, v11
	v_mul_hi_u32 v10, v12, v10
	v_mul_lo_u32 v10, v10, s0
	v_sub_u32_e32 v10, v12, v10
	v_subrev_u32_e32 v11, s0, v10
	v_cmp_le_u32_e32 vcc, s0, v10
	v_cndmask_b32_e32 v10, v10, v11, vcc
	v_subrev_u32_e32 v11, s0, v10
	v_cmp_le_u32_e32 vcc, s0, v10
	v_cndmask_b32_e32 v10, v10, v11, vcc
	v_xor_b32_e32 v10, v10, v14
	v_sub_u32_e32 v15, v10, v14
	v_ashrrev_i32_e32 v16, 31, v15
	s_cbranch_scc0 .LBB29_9
; %bb.6:
	v_mov_b32_e32 v11, v15
	s_andn2_b64 vcc, exec, s[12:13]
	v_mov_b32_e32 v12, v16
	s_cbranch_vccnz .LBB29_8
; %bb.7:
	v_mul_lo_u32 v10, s15, v15
	v_mul_lo_u32 v17, s14, v16
	v_mad_u64_u32 v[11:12], s[18:19], s14, v15, 0
	v_add3_u32 v12, v12, v17, v10
.LBB29_8:
	s_cbranch_execz .LBB29_10
	s_branch .LBB29_13
.LBB29_9:
                                        ; implicit-def: $vgpr11_vgpr12
.LBB29_10:
	s_andn2_b64 vcc, exec, s[16:17]
	s_cbranch_vccnz .LBB29_12
; %bb.11:
	v_mul_lo_u32 v10, s15, v15
	v_mul_lo_u32 v11, s14, v16
	v_mad_u64_u32 v[15:16], s[16:17], s14, v15, 0
	v_add3_u32 v16, v16, v11, v10
.LBB29_12:
	v_mov_b32_e32 v11, v15
	v_mov_b32_e32 v12, v16
.LBB29_13:
	s_cmp_eq_u32 s3, 1
	s_cselect_b64 s[16:17], -1, 0
	s_cmpk_eq_i32 s1, 0x6f
	s_cselect_b64 s[18:19], -1, 0
	s_cmpk_lg_i32 s1, 0x6f
	s_cselect_b64 s[0:1], -1, 0
	s_cmp_lg_u32 s3, 1
	v_mov_b32_e32 v10, 0
	s_cbranch_scc0 .LBB29_17
; %bb.14:
	v_mov_b32_e32 v18, v10
	s_andn2_b64 vcc, exec, s[0:1]
	v_mov_b32_e32 v17, v9
	s_cbranch_vccnz .LBB29_16
; %bb.15:
	v_mad_u64_u32 v[17:18], s[0:1], s8, v9, 0
	v_mov_b32_e32 v15, v18
	v_mad_u64_u32 v[15:16], s[0:1], s9, v9, v[15:16]
	v_mov_b32_e32 v18, v15
.LBB29_16:
	s_cbranch_execz .LBB29_18
	s_branch .LBB29_21
.LBB29_17:
                                        ; implicit-def: $vgpr17_vgpr18
.LBB29_18:
	s_andn2_b64 vcc, exec, s[18:19]
	s_cbranch_vccnz .LBB29_20
; %bb.19:
	v_mad_u64_u32 v[15:16], s[0:1], s8, v9, 0
	v_mov_b32_e32 v10, v16
	v_mad_u64_u32 v[9:10], s[0:1], s9, v9, v[10:11]
	v_mov_b32_e32 v16, v9
	v_mov_b32_e32 v9, v15
	;; [unrolled: 1-line block ×3, first 2 shown]
.LBB29_20:
	v_mov_b32_e32 v18, v10
	v_mov_b32_e32 v17, v9
.LBB29_21:
	s_load_dwordx2 s[2:3], s[4:5], 0x60
	s_cmp_lt_i32 s10, 1
	s_cbranch_scc1 .LBB29_24
; %bb.22:
	s_load_dwordx2 s[0:1], s[4:5], 0x30
	s_load_dwordx2 s[20:21], s[4:5], 0x40
	v_lshlrev_b64 v[9:10], 4, v[11:12]
	s_xor_b64 s[4:5], s[12:13], s[6:7]
	s_and_b64 s[4:5], s[4:5], exec
	s_waitcnt lgkmcnt(0)
	v_mov_b32_e32 v11, s1
	v_add_co_u32_e32 v9, vcc, s0, v9
	v_addc_co_u32_e32 v10, vcc, v11, v10, vcc
	v_add_co_u32_e32 v15, vcc, 8, v9
	v_addc_co_u32_e32 v16, vcc, 0, v10, vcc
	v_lshlrev_b64 v[9:10], 4, v[17:18]
	s_cselect_b32 s5, 0, s15
	s_cselect_b32 s4, 1, s14
	s_xor_b64 s[6:7], s[18:19], s[16:17]
	v_mov_b32_e32 v11, s21
	v_add_co_u32_e32 v9, vcc, s20, v9
	s_and_b64 s[6:7], s[6:7], exec
	v_addc_co_u32_e32 v10, vcc, v11, v10, vcc
	s_cselect_b32 s7, s9, 0
	s_cselect_b32 s6, s8, 1
	v_add_co_u32_e32 v17, vcc, 8, v9
	s_lshl_b64 s[4:5], s[4:5], 4
	v_addc_co_u32_e32 v18, vcc, 0, v10, vcc
	s_lshl_b64 s[6:7], s[6:7], 4
	v_mov_b32_e32 v11, 0
	v_mov_b32_e32 v9, 0
	;; [unrolled: 1-line block ×6, first 2 shown]
.LBB29_23:                              ; =>This Inner Loop Header: Depth=1
	global_load_dwordx4 v[21:24], v[17:18], off offset:-8
	global_load_dwordx4 v[25:28], v[15:16], off offset:-8
	s_add_i32 s10, s10, -1
	v_add_co_u32_e32 v17, vcc, s6, v17
	v_add_co_u32_e64 v15, s[0:1], s4, v15
	v_addc_co_u32_e64 v16, s[0:1], v16, v19, s[0:1]
	s_cmp_eq_u32 s10, 0
	v_addc_co_u32_e32 v18, vcc, v18, v20, vcc
	s_waitcnt vmcnt(0)
	v_mul_f64 v[29:30], v[23:24], -v[27:28]
	v_mul_f64 v[23:24], v[23:24], v[25:26]
	v_fma_f64 v[25:26], v[25:26], v[21:22], v[29:30]
	v_fma_f64 v[21:22], v[27:28], v[21:22], v[23:24]
	v_add_f64 v[9:10], v[9:10], v[25:26]
	v_add_f64 v[11:12], v[11:12], v[21:22]
	s_cbranch_scc0 .LBB29_23
	s_branch .LBB29_25
.LBB29_24:
	v_mov_b32_e32 v11, 0
	v_mov_b32_e32 v9, 0
	v_mov_b32_e32 v12, 0
	v_mov_b32_e32 v10, 0
.LBB29_25:
	v_lshlrev_b32_e32 v0, 4, v0
	ds_write_b128 v0, v[9:12]
	v_lshlrev_b64 v[9:10], 4, v[13:14]
	s_waitcnt lgkmcnt(0)
	v_mov_b32_e32 v11, s3
	v_add_co_u32_e32 v17, vcc, s2, v9
	v_addc_co_u32_e32 v18, vcc, v11, v10, vcc
	s_barrier
	global_load_dwordx4 v[9:12], v[17:18], off
	ds_read_b128 v[13:16], v0
	s_waitcnt lgkmcnt(0)
	v_mul_f64 v[19:20], v[15:16], -v[3:4]
	v_mul_f64 v[15:16], v[1:2], v[15:16]
	v_fma_f64 v[0:1], v[1:2], v[13:14], v[19:20]
	v_fma_f64 v[2:3], v[3:4], v[13:14], v[15:16]
	s_waitcnt vmcnt(0)
	v_mul_f64 v[21:22], v[7:8], -v[11:12]
	v_mul_f64 v[7:8], v[7:8], v[9:10]
	v_fma_f64 v[9:10], v[9:10], v[5:6], v[21:22]
	v_fma_f64 v[4:5], v[11:12], v[5:6], v[7:8]
	v_add_f64 v[0:1], v[9:10], v[0:1]
	v_add_f64 v[2:3], v[4:5], v[2:3]
	global_store_dwordx4 v[17:18], v[0:3], off
.LBB29_26:
	s_endpgm
	.section	.rodata,"a",@progbits
	.p2align	6, 0x0
	.amdhsa_kernel _ZN9rocsparseL16sddmm_ell_kernelILi512ELi1E21rocsparse_complex_numIdEiiS2_S2_S2_EEv20rocsparse_operation_S3_16rocsparse_order_S4_T3_S5_S5_T2_NS_24const_host_device_scalarIT1_EEPKT4_lPKT5_lS9_PT6_PKS5_21rocsparse_index_base_b
		.amdhsa_group_segment_fixed_size 8192
		.amdhsa_private_segment_fixed_size 0
		.amdhsa_kernarg_size 120
		.amdhsa_user_sgpr_count 6
		.amdhsa_user_sgpr_private_segment_buffer 1
		.amdhsa_user_sgpr_dispatch_ptr 0
		.amdhsa_user_sgpr_queue_ptr 0
		.amdhsa_user_sgpr_kernarg_segment_ptr 1
		.amdhsa_user_sgpr_dispatch_id 0
		.amdhsa_user_sgpr_flat_scratch_init 0
		.amdhsa_user_sgpr_private_segment_size 0
		.amdhsa_uses_dynamic_stack 0
		.amdhsa_system_sgpr_private_segment_wavefront_offset 0
		.amdhsa_system_sgpr_workgroup_id_x 1
		.amdhsa_system_sgpr_workgroup_id_y 0
		.amdhsa_system_sgpr_workgroup_id_z 0
		.amdhsa_system_sgpr_workgroup_info 0
		.amdhsa_system_vgpr_workitem_id 0
		.amdhsa_next_free_vgpr 31
		.amdhsa_next_free_sgpr 22
		.amdhsa_reserve_vcc 1
		.amdhsa_reserve_flat_scratch 0
		.amdhsa_float_round_mode_32 0
		.amdhsa_float_round_mode_16_64 0
		.amdhsa_float_denorm_mode_32 3
		.amdhsa_float_denorm_mode_16_64 3
		.amdhsa_dx10_clamp 1
		.amdhsa_ieee_mode 1
		.amdhsa_fp16_overflow 0
		.amdhsa_exception_fp_ieee_invalid_op 0
		.amdhsa_exception_fp_denorm_src 0
		.amdhsa_exception_fp_ieee_div_zero 0
		.amdhsa_exception_fp_ieee_overflow 0
		.amdhsa_exception_fp_ieee_underflow 0
		.amdhsa_exception_fp_ieee_inexact 0
		.amdhsa_exception_int_div_zero 0
	.end_amdhsa_kernel
	.section	.text._ZN9rocsparseL16sddmm_ell_kernelILi512ELi1E21rocsparse_complex_numIdEiiS2_S2_S2_EEv20rocsparse_operation_S3_16rocsparse_order_S4_T3_S5_S5_T2_NS_24const_host_device_scalarIT1_EEPKT4_lPKT5_lS9_PT6_PKS5_21rocsparse_index_base_b,"axG",@progbits,_ZN9rocsparseL16sddmm_ell_kernelILi512ELi1E21rocsparse_complex_numIdEiiS2_S2_S2_EEv20rocsparse_operation_S3_16rocsparse_order_S4_T3_S5_S5_T2_NS_24const_host_device_scalarIT1_EEPKT4_lPKT5_lS9_PT6_PKS5_21rocsparse_index_base_b,comdat
.Lfunc_end29:
	.size	_ZN9rocsparseL16sddmm_ell_kernelILi512ELi1E21rocsparse_complex_numIdEiiS2_S2_S2_EEv20rocsparse_operation_S3_16rocsparse_order_S4_T3_S5_S5_T2_NS_24const_host_device_scalarIT1_EEPKT4_lPKT5_lS9_PT6_PKS5_21rocsparse_index_base_b, .Lfunc_end29-_ZN9rocsparseL16sddmm_ell_kernelILi512ELi1E21rocsparse_complex_numIdEiiS2_S2_S2_EEv20rocsparse_operation_S3_16rocsparse_order_S4_T3_S5_S5_T2_NS_24const_host_device_scalarIT1_EEPKT4_lPKT5_lS9_PT6_PKS5_21rocsparse_index_base_b
                                        ; -- End function
	.set _ZN9rocsparseL16sddmm_ell_kernelILi512ELi1E21rocsparse_complex_numIdEiiS2_S2_S2_EEv20rocsparse_operation_S3_16rocsparse_order_S4_T3_S5_S5_T2_NS_24const_host_device_scalarIT1_EEPKT4_lPKT5_lS9_PT6_PKS5_21rocsparse_index_base_b.num_vgpr, 31
	.set _ZN9rocsparseL16sddmm_ell_kernelILi512ELi1E21rocsparse_complex_numIdEiiS2_S2_S2_EEv20rocsparse_operation_S3_16rocsparse_order_S4_T3_S5_S5_T2_NS_24const_host_device_scalarIT1_EEPKT4_lPKT5_lS9_PT6_PKS5_21rocsparse_index_base_b.num_agpr, 0
	.set _ZN9rocsparseL16sddmm_ell_kernelILi512ELi1E21rocsparse_complex_numIdEiiS2_S2_S2_EEv20rocsparse_operation_S3_16rocsparse_order_S4_T3_S5_S5_T2_NS_24const_host_device_scalarIT1_EEPKT4_lPKT5_lS9_PT6_PKS5_21rocsparse_index_base_b.numbered_sgpr, 22
	.set _ZN9rocsparseL16sddmm_ell_kernelILi512ELi1E21rocsparse_complex_numIdEiiS2_S2_S2_EEv20rocsparse_operation_S3_16rocsparse_order_S4_T3_S5_S5_T2_NS_24const_host_device_scalarIT1_EEPKT4_lPKT5_lS9_PT6_PKS5_21rocsparse_index_base_b.num_named_barrier, 0
	.set _ZN9rocsparseL16sddmm_ell_kernelILi512ELi1E21rocsparse_complex_numIdEiiS2_S2_S2_EEv20rocsparse_operation_S3_16rocsparse_order_S4_T3_S5_S5_T2_NS_24const_host_device_scalarIT1_EEPKT4_lPKT5_lS9_PT6_PKS5_21rocsparse_index_base_b.private_seg_size, 0
	.set _ZN9rocsparseL16sddmm_ell_kernelILi512ELi1E21rocsparse_complex_numIdEiiS2_S2_S2_EEv20rocsparse_operation_S3_16rocsparse_order_S4_T3_S5_S5_T2_NS_24const_host_device_scalarIT1_EEPKT4_lPKT5_lS9_PT6_PKS5_21rocsparse_index_base_b.uses_vcc, 1
	.set _ZN9rocsparseL16sddmm_ell_kernelILi512ELi1E21rocsparse_complex_numIdEiiS2_S2_S2_EEv20rocsparse_operation_S3_16rocsparse_order_S4_T3_S5_S5_T2_NS_24const_host_device_scalarIT1_EEPKT4_lPKT5_lS9_PT6_PKS5_21rocsparse_index_base_b.uses_flat_scratch, 0
	.set _ZN9rocsparseL16sddmm_ell_kernelILi512ELi1E21rocsparse_complex_numIdEiiS2_S2_S2_EEv20rocsparse_operation_S3_16rocsparse_order_S4_T3_S5_S5_T2_NS_24const_host_device_scalarIT1_EEPKT4_lPKT5_lS9_PT6_PKS5_21rocsparse_index_base_b.has_dyn_sized_stack, 0
	.set _ZN9rocsparseL16sddmm_ell_kernelILi512ELi1E21rocsparse_complex_numIdEiiS2_S2_S2_EEv20rocsparse_operation_S3_16rocsparse_order_S4_T3_S5_S5_T2_NS_24const_host_device_scalarIT1_EEPKT4_lPKT5_lS9_PT6_PKS5_21rocsparse_index_base_b.has_recursion, 0
	.set _ZN9rocsparseL16sddmm_ell_kernelILi512ELi1E21rocsparse_complex_numIdEiiS2_S2_S2_EEv20rocsparse_operation_S3_16rocsparse_order_S4_T3_S5_S5_T2_NS_24const_host_device_scalarIT1_EEPKT4_lPKT5_lS9_PT6_PKS5_21rocsparse_index_base_b.has_indirect_call, 0
	.section	.AMDGPU.csdata,"",@progbits
; Kernel info:
; codeLenInByte = 1104
; TotalNumSgprs: 26
; NumVgprs: 31
; ScratchSize: 0
; MemoryBound: 0
; FloatMode: 240
; IeeeMode: 1
; LDSByteSize: 8192 bytes/workgroup (compile time only)
; SGPRBlocks: 3
; VGPRBlocks: 7
; NumSGPRsForWavesPerEU: 26
; NumVGPRsForWavesPerEU: 31
; Occupancy: 8
; WaveLimiterHint : 0
; COMPUTE_PGM_RSRC2:SCRATCH_EN: 0
; COMPUTE_PGM_RSRC2:USER_SGPR: 6
; COMPUTE_PGM_RSRC2:TRAP_HANDLER: 0
; COMPUTE_PGM_RSRC2:TGID_X_EN: 1
; COMPUTE_PGM_RSRC2:TGID_Y_EN: 0
; COMPUTE_PGM_RSRC2:TGID_Z_EN: 0
; COMPUTE_PGM_RSRC2:TIDIG_COMP_CNT: 0
	.section	.text._ZN9rocsparseL23sddmm_ell_sample_kernelILi16ELi32EDF16_lDF16_EEvT2_S1_PKT3_lS1_PS2_PKS1_21rocsparse_index_base_,"axG",@progbits,_ZN9rocsparseL23sddmm_ell_sample_kernelILi16ELi32EDF16_lDF16_EEvT2_S1_PKT3_lS1_PS2_PKS1_21rocsparse_index_base_,comdat
	.globl	_ZN9rocsparseL23sddmm_ell_sample_kernelILi16ELi32EDF16_lDF16_EEvT2_S1_PKT3_lS1_PS2_PKS1_21rocsparse_index_base_ ; -- Begin function _ZN9rocsparseL23sddmm_ell_sample_kernelILi16ELi32EDF16_lDF16_EEvT2_S1_PKT3_lS1_PS2_PKS1_21rocsparse_index_base_
	.p2align	8
	.type	_ZN9rocsparseL23sddmm_ell_sample_kernelILi16ELi32EDF16_lDF16_EEvT2_S1_PKT3_lS1_PS2_PKS1_21rocsparse_index_base_,@function
_ZN9rocsparseL23sddmm_ell_sample_kernelILi16ELi32EDF16_lDF16_EEvT2_S1_PKT3_lS1_PS2_PKS1_21rocsparse_index_base_: ; @_ZN9rocsparseL23sddmm_ell_sample_kernelILi16ELi32EDF16_lDF16_EEvT2_S1_PKT3_lS1_PS2_PKS1_21rocsparse_index_base_
; %bb.0:
	s_load_dwordx4 s[0:3], s[4:5], 0x18
	v_lshrrev_b32_e32 v1, 5, v0
	v_lshl_or_b32 v2, s6, 4, v1
	v_mov_b32_e32 v1, 0
	v_mov_b32_e32 v3, v1
	s_waitcnt lgkmcnt(0)
	v_cmp_gt_i64_e32 vcc, s[2:3], v[2:3]
	s_and_saveexec_b64 s[2:3], vcc
	s_cbranch_execz .LBB30_6
; %bb.1:
	s_load_dwordx4 s[8:11], s[4:5], 0x0
	v_and_b32_e32 v0, 31, v0
	s_waitcnt lgkmcnt(0)
	v_cmp_gt_i64_e32 vcc, s[8:9], v[0:1]
	s_and_b64 exec, exec, vcc
	s_cbranch_execz .LBB30_6
; %bb.2:
	v_mad_u64_u32 v[4:5], s[2:3], s8, v2, v[0:1]
	s_load_dwordx4 s[12:15], s[4:5], 0x28
	s_load_dwordx2 s[16:17], s[4:5], 0x10
	s_load_dword s6, s[4:5], 0x38
	v_mov_b32_e32 v3, v5
	v_mad_u64_u32 v[2:3], s[2:3], s9, v2, v[3:4]
	s_waitcnt lgkmcnt(0)
	v_mov_b32_e32 v6, s15
	v_mov_b32_e32 v7, s17
	;; [unrolled: 1-line block ×3, first 2 shown]
	v_lshlrev_b64 v[2:3], 3, v[4:5]
	v_lshlrev_b64 v[4:5], 1, v[4:5]
	v_add_co_u32_e32 v2, vcc, s14, v2
	v_addc_co_u32_e32 v3, vcc, v6, v3, vcc
	v_mov_b32_e32 v6, s13
	v_add_co_u32_e32 v4, vcc, s12, v4
	v_addc_co_u32_e32 v5, vcc, v6, v5, vcc
	v_lshlrev_b32_e32 v6, 1, v0
	v_add_co_u32_e32 v6, vcc, s16, v6
	s_lshl_b64 s[2:3], s[0:1], 1
	v_addc_co_u32_e32 v7, vcc, 0, v7, vcc
	s_mov_b64 s[4:5], 0
	s_branch .LBB30_4
.LBB30_3:                               ;   in Loop: Header=BB30_4 Depth=1
	s_or_b64 exec, exec, s[0:1]
	v_add_co_u32_e32 v0, vcc, 32, v0
	v_addc_co_u32_e32 v1, vcc, 0, v1, vcc
	v_add_co_u32_e32 v2, vcc, 0x100, v2
	v_addc_co_u32_e32 v3, vcc, 0, v3, vcc
	v_cmp_le_i64_e32 vcc, s[8:9], v[0:1]
	v_add_co_u32_e64 v4, s[0:1], 64, v4
	s_or_b64 s[4:5], vcc, s[4:5]
	v_add_co_u32_e32 v6, vcc, 64, v6
	v_addc_co_u32_e64 v5, s[0:1], 0, v5, s[0:1]
	v_addc_co_u32_e32 v7, vcc, 0, v7, vcc
	s_andn2_b64 exec, exec, s[4:5]
	s_cbranch_execz .LBB30_6
.LBB30_4:                               ; =>This Inner Loop Header: Depth=1
	global_load_dwordx2 v[8:9], v[2:3], off
	s_waitcnt vmcnt(0)
	v_subrev_co_u32_e32 v8, vcc, s6, v8
	v_subbrev_co_u32_e32 v9, vcc, 0, v9, vcc
	v_cmp_lt_i64_e32 vcc, -1, v[8:9]
	v_cmp_gt_i64_e64 s[0:1], s[10:11], v[8:9]
	s_and_b64 s[12:13], vcc, s[0:1]
	s_and_saveexec_b64 s[0:1], s[12:13]
	s_cbranch_execz .LBB30_3
; %bb.5:                                ;   in Loop: Header=BB30_4 Depth=1
	v_mad_u64_u32 v[10:11], s[12:13], s2, v8, v[6:7]
	v_mul_lo_u32 v9, s2, v9
	v_mul_lo_u32 v8, s3, v8
	v_add3_u32 v11, v8, v11, v9
	global_load_ushort v8, v[10:11], off
	s_waitcnt vmcnt(0)
	global_store_short v[4:5], v8, off
	s_branch .LBB30_3
.LBB30_6:
	s_endpgm
	.section	.rodata,"a",@progbits
	.p2align	6, 0x0
	.amdhsa_kernel _ZN9rocsparseL23sddmm_ell_sample_kernelILi16ELi32EDF16_lDF16_EEvT2_S1_PKT3_lS1_PS2_PKS1_21rocsparse_index_base_
		.amdhsa_group_segment_fixed_size 0
		.amdhsa_private_segment_fixed_size 0
		.amdhsa_kernarg_size 60
		.amdhsa_user_sgpr_count 6
		.amdhsa_user_sgpr_private_segment_buffer 1
		.amdhsa_user_sgpr_dispatch_ptr 0
		.amdhsa_user_sgpr_queue_ptr 0
		.amdhsa_user_sgpr_kernarg_segment_ptr 1
		.amdhsa_user_sgpr_dispatch_id 0
		.amdhsa_user_sgpr_flat_scratch_init 0
		.amdhsa_user_sgpr_private_segment_size 0
		.amdhsa_uses_dynamic_stack 0
		.amdhsa_system_sgpr_private_segment_wavefront_offset 0
		.amdhsa_system_sgpr_workgroup_id_x 1
		.amdhsa_system_sgpr_workgroup_id_y 0
		.amdhsa_system_sgpr_workgroup_id_z 0
		.amdhsa_system_sgpr_workgroup_info 0
		.amdhsa_system_vgpr_workitem_id 0
		.amdhsa_next_free_vgpr 12
		.amdhsa_next_free_sgpr 18
		.amdhsa_reserve_vcc 1
		.amdhsa_reserve_flat_scratch 0
		.amdhsa_float_round_mode_32 0
		.amdhsa_float_round_mode_16_64 0
		.amdhsa_float_denorm_mode_32 3
		.amdhsa_float_denorm_mode_16_64 3
		.amdhsa_dx10_clamp 1
		.amdhsa_ieee_mode 1
		.amdhsa_fp16_overflow 0
		.amdhsa_exception_fp_ieee_invalid_op 0
		.amdhsa_exception_fp_denorm_src 0
		.amdhsa_exception_fp_ieee_div_zero 0
		.amdhsa_exception_fp_ieee_overflow 0
		.amdhsa_exception_fp_ieee_underflow 0
		.amdhsa_exception_fp_ieee_inexact 0
		.amdhsa_exception_int_div_zero 0
	.end_amdhsa_kernel
	.section	.text._ZN9rocsparseL23sddmm_ell_sample_kernelILi16ELi32EDF16_lDF16_EEvT2_S1_PKT3_lS1_PS2_PKS1_21rocsparse_index_base_,"axG",@progbits,_ZN9rocsparseL23sddmm_ell_sample_kernelILi16ELi32EDF16_lDF16_EEvT2_S1_PKT3_lS1_PS2_PKS1_21rocsparse_index_base_,comdat
.Lfunc_end30:
	.size	_ZN9rocsparseL23sddmm_ell_sample_kernelILi16ELi32EDF16_lDF16_EEvT2_S1_PKT3_lS1_PS2_PKS1_21rocsparse_index_base_, .Lfunc_end30-_ZN9rocsparseL23sddmm_ell_sample_kernelILi16ELi32EDF16_lDF16_EEvT2_S1_PKT3_lS1_PS2_PKS1_21rocsparse_index_base_
                                        ; -- End function
	.set _ZN9rocsparseL23sddmm_ell_sample_kernelILi16ELi32EDF16_lDF16_EEvT2_S1_PKT3_lS1_PS2_PKS1_21rocsparse_index_base_.num_vgpr, 12
	.set _ZN9rocsparseL23sddmm_ell_sample_kernelILi16ELi32EDF16_lDF16_EEvT2_S1_PKT3_lS1_PS2_PKS1_21rocsparse_index_base_.num_agpr, 0
	.set _ZN9rocsparseL23sddmm_ell_sample_kernelILi16ELi32EDF16_lDF16_EEvT2_S1_PKT3_lS1_PS2_PKS1_21rocsparse_index_base_.numbered_sgpr, 18
	.set _ZN9rocsparseL23sddmm_ell_sample_kernelILi16ELi32EDF16_lDF16_EEvT2_S1_PKT3_lS1_PS2_PKS1_21rocsparse_index_base_.num_named_barrier, 0
	.set _ZN9rocsparseL23sddmm_ell_sample_kernelILi16ELi32EDF16_lDF16_EEvT2_S1_PKT3_lS1_PS2_PKS1_21rocsparse_index_base_.private_seg_size, 0
	.set _ZN9rocsparseL23sddmm_ell_sample_kernelILi16ELi32EDF16_lDF16_EEvT2_S1_PKT3_lS1_PS2_PKS1_21rocsparse_index_base_.uses_vcc, 1
	.set _ZN9rocsparseL23sddmm_ell_sample_kernelILi16ELi32EDF16_lDF16_EEvT2_S1_PKT3_lS1_PS2_PKS1_21rocsparse_index_base_.uses_flat_scratch, 0
	.set _ZN9rocsparseL23sddmm_ell_sample_kernelILi16ELi32EDF16_lDF16_EEvT2_S1_PKT3_lS1_PS2_PKS1_21rocsparse_index_base_.has_dyn_sized_stack, 0
	.set _ZN9rocsparseL23sddmm_ell_sample_kernelILi16ELi32EDF16_lDF16_EEvT2_S1_PKT3_lS1_PS2_PKS1_21rocsparse_index_base_.has_recursion, 0
	.set _ZN9rocsparseL23sddmm_ell_sample_kernelILi16ELi32EDF16_lDF16_EEvT2_S1_PKT3_lS1_PS2_PKS1_21rocsparse_index_base_.has_indirect_call, 0
	.section	.AMDGPU.csdata,"",@progbits
; Kernel info:
; codeLenInByte = 360
; TotalNumSgprs: 22
; NumVgprs: 12
; ScratchSize: 0
; MemoryBound: 0
; FloatMode: 240
; IeeeMode: 1
; LDSByteSize: 0 bytes/workgroup (compile time only)
; SGPRBlocks: 2
; VGPRBlocks: 2
; NumSGPRsForWavesPerEU: 22
; NumVGPRsForWavesPerEU: 12
; Occupancy: 10
; WaveLimiterHint : 1
; COMPUTE_PGM_RSRC2:SCRATCH_EN: 0
; COMPUTE_PGM_RSRC2:USER_SGPR: 6
; COMPUTE_PGM_RSRC2:TRAP_HANDLER: 0
; COMPUTE_PGM_RSRC2:TGID_X_EN: 1
; COMPUTE_PGM_RSRC2:TGID_Y_EN: 0
; COMPUTE_PGM_RSRC2:TGID_Z_EN: 0
; COMPUTE_PGM_RSRC2:TIDIG_COMP_CNT: 0
	.section	.text._ZN9rocsparseL23sddmm_ell_sample_kernelILi16ELi64EDF16_lDF16_EEvT2_S1_PKT3_lS1_PS2_PKS1_21rocsparse_index_base_,"axG",@progbits,_ZN9rocsparseL23sddmm_ell_sample_kernelILi16ELi64EDF16_lDF16_EEvT2_S1_PKT3_lS1_PS2_PKS1_21rocsparse_index_base_,comdat
	.globl	_ZN9rocsparseL23sddmm_ell_sample_kernelILi16ELi64EDF16_lDF16_EEvT2_S1_PKT3_lS1_PS2_PKS1_21rocsparse_index_base_ ; -- Begin function _ZN9rocsparseL23sddmm_ell_sample_kernelILi16ELi64EDF16_lDF16_EEvT2_S1_PKT3_lS1_PS2_PKS1_21rocsparse_index_base_
	.p2align	8
	.type	_ZN9rocsparseL23sddmm_ell_sample_kernelILi16ELi64EDF16_lDF16_EEvT2_S1_PKT3_lS1_PS2_PKS1_21rocsparse_index_base_,@function
_ZN9rocsparseL23sddmm_ell_sample_kernelILi16ELi64EDF16_lDF16_EEvT2_S1_PKT3_lS1_PS2_PKS1_21rocsparse_index_base_: ; @_ZN9rocsparseL23sddmm_ell_sample_kernelILi16ELi64EDF16_lDF16_EEvT2_S1_PKT3_lS1_PS2_PKS1_21rocsparse_index_base_
; %bb.0:
	s_load_dwordx4 s[0:3], s[4:5], 0x18
	v_lshrrev_b32_e32 v1, 6, v0
	v_lshl_or_b32 v2, s6, 4, v1
	v_mov_b32_e32 v1, 0
	v_mov_b32_e32 v3, v1
	s_waitcnt lgkmcnt(0)
	v_cmp_gt_i64_e32 vcc, s[2:3], v[2:3]
	s_and_saveexec_b64 s[2:3], vcc
	s_cbranch_execz .LBB31_6
; %bb.1:
	s_load_dwordx4 s[8:11], s[4:5], 0x0
	v_and_b32_e32 v0, 63, v0
	s_waitcnt lgkmcnt(0)
	v_cmp_gt_i64_e32 vcc, s[8:9], v[0:1]
	s_and_b64 exec, exec, vcc
	s_cbranch_execz .LBB31_6
; %bb.2:
	v_mad_u64_u32 v[4:5], s[2:3], s8, v2, v[0:1]
	s_load_dwordx4 s[12:15], s[4:5], 0x28
	s_load_dwordx2 s[16:17], s[4:5], 0x10
	s_load_dword s6, s[4:5], 0x38
	v_mov_b32_e32 v3, v5
	v_mad_u64_u32 v[2:3], s[2:3], s9, v2, v[3:4]
	s_waitcnt lgkmcnt(0)
	v_mov_b32_e32 v6, s15
	v_mov_b32_e32 v7, s17
	;; [unrolled: 1-line block ×3, first 2 shown]
	v_lshlrev_b64 v[2:3], 3, v[4:5]
	v_lshlrev_b64 v[4:5], 1, v[4:5]
	v_add_co_u32_e32 v2, vcc, s14, v2
	v_addc_co_u32_e32 v3, vcc, v6, v3, vcc
	v_mov_b32_e32 v6, s13
	v_add_co_u32_e32 v4, vcc, s12, v4
	v_addc_co_u32_e32 v5, vcc, v6, v5, vcc
	v_lshlrev_b32_e32 v6, 1, v0
	v_add_co_u32_e32 v6, vcc, s16, v6
	s_lshl_b64 s[2:3], s[0:1], 1
	v_addc_co_u32_e32 v7, vcc, 0, v7, vcc
	s_mov_b64 s[4:5], 0
	s_branch .LBB31_4
.LBB31_3:                               ;   in Loop: Header=BB31_4 Depth=1
	s_or_b64 exec, exec, s[0:1]
	v_add_co_u32_e32 v0, vcc, 64, v0
	v_addc_co_u32_e32 v1, vcc, 0, v1, vcc
	v_add_co_u32_e32 v2, vcc, 0x200, v2
	v_addc_co_u32_e32 v3, vcc, 0, v3, vcc
	;; [unrolled: 2-line block ×3, first 2 shown]
	v_cmp_le_i64_e64 s[0:1], s[8:9], v[0:1]
	v_add_co_u32_e32 v6, vcc, 0x80, v6
	s_or_b64 s[4:5], s[0:1], s[4:5]
	v_addc_co_u32_e32 v7, vcc, 0, v7, vcc
	s_andn2_b64 exec, exec, s[4:5]
	s_cbranch_execz .LBB31_6
.LBB31_4:                               ; =>This Inner Loop Header: Depth=1
	global_load_dwordx2 v[8:9], v[2:3], off
	s_waitcnt vmcnt(0)
	v_subrev_co_u32_e32 v8, vcc, s6, v8
	v_subbrev_co_u32_e32 v9, vcc, 0, v9, vcc
	v_cmp_lt_i64_e32 vcc, -1, v[8:9]
	v_cmp_gt_i64_e64 s[0:1], s[10:11], v[8:9]
	s_and_b64 s[12:13], vcc, s[0:1]
	s_and_saveexec_b64 s[0:1], s[12:13]
	s_cbranch_execz .LBB31_3
; %bb.5:                                ;   in Loop: Header=BB31_4 Depth=1
	v_mad_u64_u32 v[10:11], s[12:13], s2, v8, v[6:7]
	v_mul_lo_u32 v9, s2, v9
	v_mul_lo_u32 v8, s3, v8
	v_add3_u32 v11, v8, v11, v9
	global_load_ushort v8, v[10:11], off
	s_waitcnt vmcnt(0)
	global_store_short v[4:5], v8, off
	s_branch .LBB31_3
.LBB31_6:
	s_endpgm
	.section	.rodata,"a",@progbits
	.p2align	6, 0x0
	.amdhsa_kernel _ZN9rocsparseL23sddmm_ell_sample_kernelILi16ELi64EDF16_lDF16_EEvT2_S1_PKT3_lS1_PS2_PKS1_21rocsparse_index_base_
		.amdhsa_group_segment_fixed_size 0
		.amdhsa_private_segment_fixed_size 0
		.amdhsa_kernarg_size 60
		.amdhsa_user_sgpr_count 6
		.amdhsa_user_sgpr_private_segment_buffer 1
		.amdhsa_user_sgpr_dispatch_ptr 0
		.amdhsa_user_sgpr_queue_ptr 0
		.amdhsa_user_sgpr_kernarg_segment_ptr 1
		.amdhsa_user_sgpr_dispatch_id 0
		.amdhsa_user_sgpr_flat_scratch_init 0
		.amdhsa_user_sgpr_private_segment_size 0
		.amdhsa_uses_dynamic_stack 0
		.amdhsa_system_sgpr_private_segment_wavefront_offset 0
		.amdhsa_system_sgpr_workgroup_id_x 1
		.amdhsa_system_sgpr_workgroup_id_y 0
		.amdhsa_system_sgpr_workgroup_id_z 0
		.amdhsa_system_sgpr_workgroup_info 0
		.amdhsa_system_vgpr_workitem_id 0
		.amdhsa_next_free_vgpr 12
		.amdhsa_next_free_sgpr 18
		.amdhsa_reserve_vcc 1
		.amdhsa_reserve_flat_scratch 0
		.amdhsa_float_round_mode_32 0
		.amdhsa_float_round_mode_16_64 0
		.amdhsa_float_denorm_mode_32 3
		.amdhsa_float_denorm_mode_16_64 3
		.amdhsa_dx10_clamp 1
		.amdhsa_ieee_mode 1
		.amdhsa_fp16_overflow 0
		.amdhsa_exception_fp_ieee_invalid_op 0
		.amdhsa_exception_fp_denorm_src 0
		.amdhsa_exception_fp_ieee_div_zero 0
		.amdhsa_exception_fp_ieee_overflow 0
		.amdhsa_exception_fp_ieee_underflow 0
		.amdhsa_exception_fp_ieee_inexact 0
		.amdhsa_exception_int_div_zero 0
	.end_amdhsa_kernel
	.section	.text._ZN9rocsparseL23sddmm_ell_sample_kernelILi16ELi64EDF16_lDF16_EEvT2_S1_PKT3_lS1_PS2_PKS1_21rocsparse_index_base_,"axG",@progbits,_ZN9rocsparseL23sddmm_ell_sample_kernelILi16ELi64EDF16_lDF16_EEvT2_S1_PKT3_lS1_PS2_PKS1_21rocsparse_index_base_,comdat
.Lfunc_end31:
	.size	_ZN9rocsparseL23sddmm_ell_sample_kernelILi16ELi64EDF16_lDF16_EEvT2_S1_PKT3_lS1_PS2_PKS1_21rocsparse_index_base_, .Lfunc_end31-_ZN9rocsparseL23sddmm_ell_sample_kernelILi16ELi64EDF16_lDF16_EEvT2_S1_PKT3_lS1_PS2_PKS1_21rocsparse_index_base_
                                        ; -- End function
	.set _ZN9rocsparseL23sddmm_ell_sample_kernelILi16ELi64EDF16_lDF16_EEvT2_S1_PKT3_lS1_PS2_PKS1_21rocsparse_index_base_.num_vgpr, 12
	.set _ZN9rocsparseL23sddmm_ell_sample_kernelILi16ELi64EDF16_lDF16_EEvT2_S1_PKT3_lS1_PS2_PKS1_21rocsparse_index_base_.num_agpr, 0
	.set _ZN9rocsparseL23sddmm_ell_sample_kernelILi16ELi64EDF16_lDF16_EEvT2_S1_PKT3_lS1_PS2_PKS1_21rocsparse_index_base_.numbered_sgpr, 18
	.set _ZN9rocsparseL23sddmm_ell_sample_kernelILi16ELi64EDF16_lDF16_EEvT2_S1_PKT3_lS1_PS2_PKS1_21rocsparse_index_base_.num_named_barrier, 0
	.set _ZN9rocsparseL23sddmm_ell_sample_kernelILi16ELi64EDF16_lDF16_EEvT2_S1_PKT3_lS1_PS2_PKS1_21rocsparse_index_base_.private_seg_size, 0
	.set _ZN9rocsparseL23sddmm_ell_sample_kernelILi16ELi64EDF16_lDF16_EEvT2_S1_PKT3_lS1_PS2_PKS1_21rocsparse_index_base_.uses_vcc, 1
	.set _ZN9rocsparseL23sddmm_ell_sample_kernelILi16ELi64EDF16_lDF16_EEvT2_S1_PKT3_lS1_PS2_PKS1_21rocsparse_index_base_.uses_flat_scratch, 0
	.set _ZN9rocsparseL23sddmm_ell_sample_kernelILi16ELi64EDF16_lDF16_EEvT2_S1_PKT3_lS1_PS2_PKS1_21rocsparse_index_base_.has_dyn_sized_stack, 0
	.set _ZN9rocsparseL23sddmm_ell_sample_kernelILi16ELi64EDF16_lDF16_EEvT2_S1_PKT3_lS1_PS2_PKS1_21rocsparse_index_base_.has_recursion, 0
	.set _ZN9rocsparseL23sddmm_ell_sample_kernelILi16ELi64EDF16_lDF16_EEvT2_S1_PKT3_lS1_PS2_PKS1_21rocsparse_index_base_.has_indirect_call, 0
	.section	.AMDGPU.csdata,"",@progbits
; Kernel info:
; codeLenInByte = 364
; TotalNumSgprs: 22
; NumVgprs: 12
; ScratchSize: 0
; MemoryBound: 0
; FloatMode: 240
; IeeeMode: 1
; LDSByteSize: 0 bytes/workgroup (compile time only)
; SGPRBlocks: 2
; VGPRBlocks: 2
; NumSGPRsForWavesPerEU: 22
; NumVGPRsForWavesPerEU: 12
; Occupancy: 10
; WaveLimiterHint : 1
; COMPUTE_PGM_RSRC2:SCRATCH_EN: 0
; COMPUTE_PGM_RSRC2:USER_SGPR: 6
; COMPUTE_PGM_RSRC2:TRAP_HANDLER: 0
; COMPUTE_PGM_RSRC2:TGID_X_EN: 1
; COMPUTE_PGM_RSRC2:TGID_Y_EN: 0
; COMPUTE_PGM_RSRC2:TGID_Z_EN: 0
; COMPUTE_PGM_RSRC2:TIDIG_COMP_CNT: 0
	.section	.text._ZN9rocsparseL16sddmm_ell_kernelILi512ELi8EDF16_llDF16_DF16_DF16_EEv20rocsparse_operation_S1_16rocsparse_order_S2_T3_S3_S3_T2_NS_24const_host_device_scalarIT1_EEPKT4_lPKT5_lS7_PT6_PKS3_21rocsparse_index_base_b,"axG",@progbits,_ZN9rocsparseL16sddmm_ell_kernelILi512ELi8EDF16_llDF16_DF16_DF16_EEv20rocsparse_operation_S1_16rocsparse_order_S2_T3_S3_S3_T2_NS_24const_host_device_scalarIT1_EEPKT4_lPKT5_lS7_PT6_PKS3_21rocsparse_index_base_b,comdat
	.globl	_ZN9rocsparseL16sddmm_ell_kernelILi512ELi8EDF16_llDF16_DF16_DF16_EEv20rocsparse_operation_S1_16rocsparse_order_S2_T3_S3_S3_T2_NS_24const_host_device_scalarIT1_EEPKT4_lPKT5_lS7_PT6_PKS3_21rocsparse_index_base_b ; -- Begin function _ZN9rocsparseL16sddmm_ell_kernelILi512ELi8EDF16_llDF16_DF16_DF16_EEv20rocsparse_operation_S1_16rocsparse_order_S2_T3_S3_S3_T2_NS_24const_host_device_scalarIT1_EEPKT4_lPKT5_lS7_PT6_PKS3_21rocsparse_index_base_b
	.p2align	8
	.type	_ZN9rocsparseL16sddmm_ell_kernelILi512ELi8EDF16_llDF16_DF16_DF16_EEv20rocsparse_operation_S1_16rocsparse_order_S2_T3_S3_S3_T2_NS_24const_host_device_scalarIT1_EEPKT4_lPKT5_lS7_PT6_PKS3_21rocsparse_index_base_b,@function
_ZN9rocsparseL16sddmm_ell_kernelILi512ELi8EDF16_llDF16_DF16_DF16_EEv20rocsparse_operation_S1_16rocsparse_order_S2_T3_S3_S3_T2_NS_24const_host_device_scalarIT1_EEPKT4_lPKT5_lS7_PT6_PKS3_21rocsparse_index_base_b: ; @_ZN9rocsparseL16sddmm_ell_kernelILi512ELi8EDF16_llDF16_DF16_DF16_EEv20rocsparse_operation_S1_16rocsparse_order_S2_T3_S3_S3_T2_NS_24const_host_device_scalarIT1_EEPKT4_lPKT5_lS7_PT6_PKS3_21rocsparse_index_base_b
; %bb.0:
	s_load_dwordx2 s[16:17], s[4:5], 0x70
	s_load_dwordx2 s[2:3], s[4:5], 0x30
	s_load_dwordx4 s[12:15], s[4:5], 0x50
	s_waitcnt lgkmcnt(0)
	s_bitcmp1_b32 s17, 0
	s_cselect_b64 s[8:9], -1, 0
	s_xor_b64 s[0:1], s[8:9], -1
	s_and_b64 vcc, exec, s[8:9]
	v_mov_b32_e32 v11, s2
	s_cbranch_vccnz .LBB32_2
; %bb.1:
	v_mov_b32_e32 v1, 0
	global_load_ushort v11, v1, s[2:3]
.LBB32_2:
	s_andn2_b64 vcc, exec, s[0:1]
	v_mov_b32_e32 v12, s14
	s_cbranch_vccnz .LBB32_4
; %bb.3:
	v_mov_b32_e32 v1, 0
	global_load_ushort v12, v1, s[14:15]
.LBB32_4:
	s_waitcnt vmcnt(0)
	v_cmp_eq_f16_e32 vcc, 0, v11
	v_cmp_eq_f16_e64 s[0:1], 1.0, v12
	s_and_b64 s[0:1], vcc, s[0:1]
	s_and_b64 vcc, exec, s[0:1]
	s_cbranch_vccnz .LBB32_39
; %bb.5:
	s_load_dwordx4 s[8:11], s[4:5], 0x20
	v_lshrrev_b32_e32 v13, 3, v0
	v_lshl_or_b32 v1, s6, 6, v13
	v_mov_b32_e32 v2, 0
	s_waitcnt lgkmcnt(0)
	v_cmp_gt_i64_e32 vcc, s[10:11], v[1:2]
	s_and_saveexec_b64 s[0:1], vcc
	s_cbranch_execz .LBB32_39
; %bb.6:
	s_load_dwordx2 s[10:11], s[4:5], 0x10
	s_load_dwordx2 s[6:7], s[4:5], 0x68
	s_mov_b32 s0, 0
                                        ; implicit-def: $vgpr7_vgpr8
	s_waitcnt lgkmcnt(0)
	s_mov_b32 s1, s11
	s_cmp_lg_u64 s[0:1], 0
	s_cselect_b64 s[0:1], -1, 0
	s_and_saveexec_b64 s[2:3], s[0:1]
	s_xor_b64 s[14:15], exec, s[2:3]
	s_cbranch_execz .LBB32_8
; %bb.7:
	s_ashr_i32 s0, s11, 31
	s_add_u32 s2, s10, s0
	s_mov_b32 s1, s0
	s_addc_u32 s3, s11, s0
	s_xor_b64 s[18:19], s[2:3], s[0:1]
	v_cvt_f32_u32_e32 v3, s18
	v_cvt_f32_u32_e32 v4, s19
	s_sub_u32 s2, 0, s18
	s_subb_u32 s3, 0, s19
	v_add_co_u32_e32 v7, vcc, 0, v1
	v_madmk_f32 v3, v4, 0x4f800000, v3
	v_rcp_f32_e32 v3, v3
	v_mul_f32_e32 v3, 0x5f7ffffc, v3
	v_mul_f32_e32 v4, 0x2f800000, v3
	v_trunc_f32_e32 v4, v4
	v_madmk_f32 v3, v4, 0xcf800000, v3
	v_cvt_u32_f32_e32 v4, v4
	v_cvt_u32_f32_e32 v3, v3
	v_readfirstlane_b32 s11, v4
	v_readfirstlane_b32 s0, v3
	s_mul_i32 s1, s2, s11
	s_mul_hi_u32 s20, s2, s0
	s_mul_i32 s17, s3, s0
	s_add_i32 s1, s20, s1
	s_add_i32 s1, s1, s17
	s_mul_i32 s21, s2, s0
	s_mul_i32 s20, s0, s1
	s_mul_hi_u32 s22, s0, s21
	s_mul_hi_u32 s17, s0, s1
	s_add_u32 s20, s22, s20
	s_addc_u32 s17, 0, s17
	s_mul_hi_u32 s23, s11, s21
	s_mul_i32 s21, s11, s21
	s_add_u32 s20, s20, s21
	s_mul_hi_u32 s22, s11, s1
	s_addc_u32 s17, s17, s23
	s_addc_u32 s20, s22, 0
	s_mul_i32 s1, s11, s1
	s_add_u32 s1, s17, s1
	s_addc_u32 s17, 0, s20
	s_add_u32 s20, s0, s1
	s_cselect_b64 s[0:1], -1, 0
	s_cmp_lg_u64 s[0:1], 0
	s_addc_u32 s11, s11, s17
	s_mul_i32 s0, s2, s11
	s_mul_hi_u32 s1, s2, s20
	s_add_i32 s0, s1, s0
	s_mul_i32 s3, s3, s20
	s_add_i32 s0, s0, s3
	s_mul_i32 s2, s2, s20
	s_mul_hi_u32 s3, s11, s2
	s_mul_i32 s17, s11, s2
	s_mul_i32 s22, s20, s0
	s_mul_hi_u32 s2, s20, s2
	s_mul_hi_u32 s21, s20, s0
	s_add_u32 s2, s2, s22
	s_addc_u32 s21, 0, s21
	s_add_u32 s2, s2, s17
	s_mul_hi_u32 s1, s11, s0
	s_addc_u32 s2, s21, s3
	s_addc_u32 s1, s1, 0
	s_mul_i32 s0, s11, s0
	s_add_u32 s0, s2, s0
	s_addc_u32 s2, 0, s1
	s_add_u32 s3, s20, s0
	s_cselect_b64 s[0:1], -1, 0
	s_cmp_lg_u64 s[0:1], 0
	s_addc_u32 s2, s11, s2
	v_mad_u64_u32 v[3:4], s[0:1], v7, s2, 0
	v_mul_hi_u32 v5, v7, s3
	v_addc_co_u32_e64 v8, s[0:1], 0, 0, vcc
	v_add_co_u32_e32 v9, vcc, v5, v3
	v_addc_co_u32_e32 v10, vcc, 0, v4, vcc
	v_mad_u64_u32 v[3:4], s[0:1], v8, s3, 0
	v_mad_u64_u32 v[5:6], s[0:1], v8, s2, 0
	v_add_co_u32_e32 v3, vcc, v9, v3
	v_addc_co_u32_e32 v3, vcc, v10, v4, vcc
	v_addc_co_u32_e32 v4, vcc, 0, v6, vcc
	v_add_co_u32_e32 v3, vcc, v3, v5
	v_addc_co_u32_e32 v4, vcc, 0, v4, vcc
	v_mul_lo_u32 v5, s19, v3
	v_mul_lo_u32 v6, s18, v4
	v_mad_u64_u32 v[3:4], s[0:1], s18, v3, 0
	v_add3_u32 v4, v4, v6, v5
	v_sub_u32_e32 v5, v8, v4
	v_mov_b32_e32 v6, s19
	v_sub_co_u32_e32 v3, vcc, v7, v3
	v_subb_co_u32_e64 v5, s[0:1], v5, v6, vcc
	v_subrev_co_u32_e64 v7, s[0:1], s18, v3
	v_subbrev_co_u32_e64 v9, s[2:3], 0, v5, s[0:1]
	v_cmp_le_u32_e64 s[2:3], s19, v9
	v_cndmask_b32_e64 v10, 0, -1, s[2:3]
	v_cmp_le_u32_e64 s[2:3], s18, v7
	v_subb_co_u32_e64 v5, s[0:1], v5, v6, s[0:1]
	v_cndmask_b32_e64 v14, 0, -1, s[2:3]
	v_cmp_eq_u32_e64 s[2:3], s19, v9
	v_subrev_co_u32_e64 v6, s[0:1], s18, v7
	v_subb_co_u32_e32 v4, vcc, v8, v4, vcc
	v_cndmask_b32_e64 v10, v10, v14, s[2:3]
	v_subbrev_co_u32_e64 v5, s[0:1], 0, v5, s[0:1]
	v_cmp_le_u32_e32 vcc, s19, v4
	v_cmp_ne_u32_e64 s[0:1], 0, v10
	v_cndmask_b32_e64 v8, 0, -1, vcc
	v_cmp_le_u32_e32 vcc, s18, v3
	v_cndmask_b32_e64 v5, v9, v5, s[0:1]
	v_cndmask_b32_e64 v9, 0, -1, vcc
	v_cmp_eq_u32_e32 vcc, s19, v4
	v_cndmask_b32_e32 v8, v8, v9, vcc
	v_cmp_ne_u32_e32 vcc, 0, v8
	v_cndmask_b32_e32 v4, v4, v5, vcc
	v_cndmask_b32_e64 v5, v7, v6, s[0:1]
	v_cndmask_b32_e32 v3, v3, v5, vcc
	v_subrev_co_u32_e32 v7, vcc, 0, v3
	v_subbrev_co_u32_e32 v8, vcc, 0, v4, vcc
.LBB32_8:
	s_andn2_saveexec_b64 s[0:1], s[14:15]
	s_cbranch_execz .LBB32_10
; %bb.9:
	v_cvt_f32_u32_e32 v3, s10
	s_sub_i32 s2, 0, s10
	v_mov_b32_e32 v8, 0
	v_rcp_iflag_f32_e32 v3, v3
	v_mul_f32_e32 v3, 0x4f7ffffe, v3
	v_cvt_u32_f32_e32 v3, v3
	v_mul_lo_u32 v4, s2, v3
	v_mul_hi_u32 v4, v3, v4
	v_add_u32_e32 v3, v3, v4
	v_mul_hi_u32 v3, v1, v3
	v_mul_lo_u32 v3, v3, s10
	v_sub_u32_e32 v3, v1, v3
	v_subrev_u32_e32 v4, s10, v3
	v_cmp_le_u32_e32 vcc, s10, v3
	v_cndmask_b32_e32 v3, v3, v4, vcc
	v_subrev_u32_e32 v4, s10, v3
	v_cmp_le_u32_e32 vcc, s10, v3
	v_cndmask_b32_e32 v7, v3, v4, vcc
.LBB32_10:
	s_or_b64 exec, exec, s[0:1]
	v_lshlrev_b64 v[3:4], 3, v[1:2]
	v_mov_b32_e32 v5, s7
	v_add_co_u32_e32 v3, vcc, s6, v3
	v_addc_co_u32_e32 v4, vcc, v5, v4, vcc
	global_load_dwordx2 v[3:4], v[3:4], off
	s_mov_b64 s[18:19], -1
	s_waitcnt vmcnt(0)
	v_subrev_co_u32_e32 v3, vcc, s16, v3
	v_subbrev_co_u32_e32 v4, vcc, 0, v4, vcc
	v_cmp_lt_i64_e32 vcc, -1, v[3:4]
	s_and_b64 exec, exec, vcc
	s_cbranch_execz .LBB32_39
; %bb.11:
	s_load_dwordx4 s[0:3], s[4:5], 0x0
	s_load_dwordx2 s[6:7], s[4:5], 0x40
                                        ; implicit-def: $vgpr5_vgpr6
	s_waitcnt lgkmcnt(0)
	s_cmp_eq_u32 s2, 1
	s_cselect_b64 s[10:11], -1, 0
	s_cmpk_eq_i32 s0, 0x6f
	s_cselect_b64 s[14:15], -1, 0
	s_cmpk_lg_i32 s0, 0x6f
	s_cselect_b64 s[16:17], -1, 0
	s_cmp_lg_u32 s2, 1
	s_cbranch_scc0 .LBB32_15
; %bb.12:
	v_mov_b32_e32 v5, v7
	s_andn2_b64 vcc, exec, s[14:15]
	v_mov_b32_e32 v6, v8
	s_cbranch_vccnz .LBB32_14
; %bb.13:
	v_mul_lo_u32 v9, v8, s6
	v_mul_lo_u32 v10, v7, s7
	v_mad_u64_u32 v[5:6], s[18:19], v7, s6, 0
	v_add3_u32 v6, v6, v10, v9
.LBB32_14:
	s_mov_b64 s[18:19], 0
.LBB32_15:
	s_andn2_b64 vcc, exec, s[18:19]
	s_cbranch_vccnz .LBB32_19
; %bb.16:
	s_andn2_b64 vcc, exec, s[16:17]
	s_cbranch_vccnz .LBB32_18
; %bb.17:
	v_mul_lo_u32 v5, v8, s6
	v_mul_lo_u32 v6, v7, s7
	v_mad_u64_u32 v[7:8], s[16:17], v7, s6, 0
	v_add3_u32 v8, v8, v6, v5
.LBB32_18:
	v_mov_b32_e32 v5, v7
	v_mov_b32_e32 v6, v8
.LBB32_19:
	s_cmp_eq_u32 s3, 1
	s_cselect_b64 s[18:19], -1, 0
	s_cmpk_eq_i32 s1, 0x6f
	s_cselect_b64 s[20:21], -1, 0
	s_cmpk_lg_i32 s1, 0x6f
	s_cselect_b64 s[0:1], -1, 0
	s_cmp_lg_u32 s3, 1
	s_cbranch_scc0 .LBB32_23
; %bb.20:
	v_mov_b32_e32 v8, v4
	s_andn2_b64 vcc, exec, s[0:1]
	v_mov_b32_e32 v7, v3
	s_cbranch_vccnz .LBB32_22
; %bb.21:
	v_mul_lo_u32 v9, v4, s12
	v_mul_lo_u32 v10, v3, s13
	v_mad_u64_u32 v[7:8], s[0:1], v3, s12, 0
	v_add3_u32 v8, v8, v10, v9
.LBB32_22:
	s_cbranch_execz .LBB32_24
	s_branch .LBB32_27
.LBB32_23:
                                        ; implicit-def: $vgpr7_vgpr8
.LBB32_24:
	s_andn2_b64 vcc, exec, s[20:21]
	s_cbranch_vccnz .LBB32_26
; %bb.25:
	v_mul_lo_u32 v7, v4, s12
	v_mul_lo_u32 v8, v3, s13
	v_mad_u64_u32 v[3:4], s[0:1], v3, s12, 0
	v_add3_u32 v4, v4, v8, v7
.LBB32_26:
	v_mov_b32_e32 v8, v4
	v_mov_b32_e32 v7, v3
.LBB32_27:
	s_load_dwordx2 s[2:3], s[4:5], 0x60
	v_and_b32_e32 v3, 7, v0
	v_mov_b32_e32 v4, 0
	v_cmp_gt_i64_e32 vcc, s[8:9], v[3:4]
	s_and_saveexec_b64 s[16:17], vcc
	s_cbranch_execz .LBB32_31
; %bb.28:
	s_xor_b64 s[0:1], s[14:15], s[10:11]
	s_and_b64 s[0:1], s[0:1], exec
	s_cselect_b32 s1, 0, s7
	s_cselect_b32 s0, 1, s6
	s_xor_b64 s[6:7], s[20:21], s[18:19]
	s_and_b64 s[6:7], s[6:7], exec
	s_cselect_b32 s6, s12, 1
	v_mad_u64_u32 v[9:10], s[10:11], s6, v3, 0
	s_cselect_b32 s7, s13, 0
	v_lshlrev_b64 v[7:8], 1, v[7:8]
	v_mov_b32_e32 v0, v10
	v_mad_u64_u32 v[14:15], s[10:11], s7, v3, v[0:1]
	s_load_dwordx2 s[10:11], s[4:5], 0x38
	s_load_dwordx2 s[12:13], s[4:5], 0x48
	v_lshlrev_b64 v[5:6], 1, v[5:6]
	v_mov_b32_e32 v10, v14
	v_mad_u64_u32 v[14:15], s[4:5], s0, v3, 0
	v_lshlrev_b64 v[9:10], 1, v[9:10]
	s_waitcnt lgkmcnt(0)
	v_mov_b32_e32 v16, s13
	v_add_co_u32_e32 v7, vcc, v9, v7
	v_mov_b32_e32 v0, v15
	v_addc_co_u32_e32 v8, vcc, v10, v8, vcc
	v_mad_u64_u32 v[9:10], s[4:5], s1, v3, v[0:1]
	v_add_co_u32_e32 v7, vcc, s12, v7
	v_mov_b32_e32 v15, v9
	v_lshlrev_b64 v[9:10], 1, v[14:15]
	v_addc_co_u32_e32 v8, vcc, v16, v8, vcc
	v_add_co_u32_e32 v0, vcc, v9, v5
	v_addc_co_u32_e32 v6, vcc, v10, v6, vcc
	v_mov_b32_e32 v9, s11
	v_add_co_u32_e32 v5, vcc, s10, v0
	v_addc_co_u32_e32 v6, vcc, v9, v6, vcc
	v_mov_b32_e32 v0, 0
	v_mov_b32_e32 v10, v4
	s_lshl_b64 s[4:5], s[6:7], 4
	s_lshl_b64 s[6:7], s[0:1], 4
	s_mov_b64 s[10:11], 0
	v_mov_b32_e32 v9, v3
	v_mov_b32_e32 v4, v0
.LBB32_29:                              ; =>This Inner Loop Header: Depth=1
	global_load_ushort v0, v[5:6], off
	global_load_ushort v14, v[7:8], off
	v_add_co_u32_e32 v9, vcc, 8, v9
	v_mov_b32_e32 v15, s5
	v_add_co_u32_e64 v7, s[0:1], s4, v7
	v_addc_co_u32_e32 v10, vcc, 0, v10, vcc
	v_addc_co_u32_e64 v8, s[0:1], v8, v15, s[0:1]
	v_cmp_le_i64_e64 s[0:1], s[8:9], v[9:10]
	v_mov_b32_e32 v16, s7
	v_add_co_u32_e32 v5, vcc, s6, v5
	v_addc_co_u32_e32 v6, vcc, v6, v16, vcc
	s_or_b64 s[10:11], s[0:1], s[10:11]
	s_waitcnt vmcnt(0)
	v_fma_f16 v4, v0, v14, v4
	s_andn2_b64 exec, exec, s[10:11]
	s_cbranch_execnz .LBB32_29
; %bb.30:
	s_or_b64 exec, exec, s[10:11]
.LBB32_31:
	s_or_b64 exec, exec, s[16:17]
	v_lshlrev_b32_e32 v0, 4, v13
	v_lshl_or_b32 v5, v3, 1, v0
	v_cmp_gt_u32_e32 vcc, 4, v3
	ds_write_b16 v5, v4
	s_waitcnt lgkmcnt(0)
	s_barrier
	s_and_saveexec_b64 s[0:1], vcc
	s_cbranch_execz .LBB32_33
; %bb.32:
	ds_read_u16 v4, v5
	ds_read_u16 v6, v5 offset:8
	s_waitcnt lgkmcnt(0)
	v_add_f16_e32 v4, v6, v4
	ds_write_b16 v5, v4
.LBB32_33:
	s_or_b64 exec, exec, s[0:1]
	v_cmp_gt_u32_e32 vcc, 2, v3
	s_waitcnt lgkmcnt(0)
	s_barrier
	s_and_saveexec_b64 s[0:1], vcc
	s_cbranch_execz .LBB32_35
; %bb.34:
	ds_read_u16 v4, v5
	ds_read_u16 v6, v5 offset:4
	s_waitcnt lgkmcnt(0)
	v_add_f16_e32 v4, v6, v4
	ds_write_b16 v5, v4
.LBB32_35:
	s_or_b64 exec, exec, s[0:1]
	v_cmp_eq_u32_e32 vcc, 0, v3
	s_waitcnt lgkmcnt(0)
	s_barrier
	s_and_saveexec_b64 s[0:1], vcc
	s_cbranch_execz .LBB32_37
; %bb.36:
	ds_read_u16 v3, v5
	ds_read_u16 v4, v5 offset:2
	s_waitcnt lgkmcnt(0)
	v_add_f16_e32 v3, v4, v3
	ds_write_b16 v5, v3
.LBB32_37:
	s_or_b64 exec, exec, s[0:1]
	s_waitcnt lgkmcnt(0)
	s_barrier
	s_and_b64 exec, exec, vcc
	s_cbranch_execz .LBB32_39
; %bb.38:
	v_lshlrev_b64 v[1:2], 1, v[1:2]
	v_mov_b32_e32 v3, s3
	v_add_co_u32_e32 v1, vcc, s2, v1
	v_addc_co_u32_e32 v2, vcc, v3, v2, vcc
	global_load_ushort v3, v[1:2], off
	ds_read_u16 v0, v0
	s_waitcnt lgkmcnt(0)
	v_mul_f16_e32 v0, v11, v0
	s_waitcnt vmcnt(0)
	v_fma_f16 v0, v12, v3, v0
	global_store_short v[1:2], v0, off
.LBB32_39:
	s_endpgm
	.section	.rodata,"a",@progbits
	.p2align	6, 0x0
	.amdhsa_kernel _ZN9rocsparseL16sddmm_ell_kernelILi512ELi8EDF16_llDF16_DF16_DF16_EEv20rocsparse_operation_S1_16rocsparse_order_S2_T3_S3_S3_T2_NS_24const_host_device_scalarIT1_EEPKT4_lPKT5_lS7_PT6_PKS3_21rocsparse_index_base_b
		.amdhsa_group_segment_fixed_size 1024
		.amdhsa_private_segment_fixed_size 0
		.amdhsa_kernarg_size 120
		.amdhsa_user_sgpr_count 6
		.amdhsa_user_sgpr_private_segment_buffer 1
		.amdhsa_user_sgpr_dispatch_ptr 0
		.amdhsa_user_sgpr_queue_ptr 0
		.amdhsa_user_sgpr_kernarg_segment_ptr 1
		.amdhsa_user_sgpr_dispatch_id 0
		.amdhsa_user_sgpr_flat_scratch_init 0
		.amdhsa_user_sgpr_private_segment_size 0
		.amdhsa_uses_dynamic_stack 0
		.amdhsa_system_sgpr_private_segment_wavefront_offset 0
		.amdhsa_system_sgpr_workgroup_id_x 1
		.amdhsa_system_sgpr_workgroup_id_y 0
		.amdhsa_system_sgpr_workgroup_id_z 0
		.amdhsa_system_sgpr_workgroup_info 0
		.amdhsa_system_vgpr_workitem_id 0
		.amdhsa_next_free_vgpr 17
		.amdhsa_next_free_sgpr 24
		.amdhsa_reserve_vcc 1
		.amdhsa_reserve_flat_scratch 0
		.amdhsa_float_round_mode_32 0
		.amdhsa_float_round_mode_16_64 0
		.amdhsa_float_denorm_mode_32 3
		.amdhsa_float_denorm_mode_16_64 3
		.amdhsa_dx10_clamp 1
		.amdhsa_ieee_mode 1
		.amdhsa_fp16_overflow 0
		.amdhsa_exception_fp_ieee_invalid_op 0
		.amdhsa_exception_fp_denorm_src 0
		.amdhsa_exception_fp_ieee_div_zero 0
		.amdhsa_exception_fp_ieee_overflow 0
		.amdhsa_exception_fp_ieee_underflow 0
		.amdhsa_exception_fp_ieee_inexact 0
		.amdhsa_exception_int_div_zero 0
	.end_amdhsa_kernel
	.section	.text._ZN9rocsparseL16sddmm_ell_kernelILi512ELi8EDF16_llDF16_DF16_DF16_EEv20rocsparse_operation_S1_16rocsparse_order_S2_T3_S3_S3_T2_NS_24const_host_device_scalarIT1_EEPKT4_lPKT5_lS7_PT6_PKS3_21rocsparse_index_base_b,"axG",@progbits,_ZN9rocsparseL16sddmm_ell_kernelILi512ELi8EDF16_llDF16_DF16_DF16_EEv20rocsparse_operation_S1_16rocsparse_order_S2_T3_S3_S3_T2_NS_24const_host_device_scalarIT1_EEPKT4_lPKT5_lS7_PT6_PKS3_21rocsparse_index_base_b,comdat
.Lfunc_end32:
	.size	_ZN9rocsparseL16sddmm_ell_kernelILi512ELi8EDF16_llDF16_DF16_DF16_EEv20rocsparse_operation_S1_16rocsparse_order_S2_T3_S3_S3_T2_NS_24const_host_device_scalarIT1_EEPKT4_lPKT5_lS7_PT6_PKS3_21rocsparse_index_base_b, .Lfunc_end32-_ZN9rocsparseL16sddmm_ell_kernelILi512ELi8EDF16_llDF16_DF16_DF16_EEv20rocsparse_operation_S1_16rocsparse_order_S2_T3_S3_S3_T2_NS_24const_host_device_scalarIT1_EEPKT4_lPKT5_lS7_PT6_PKS3_21rocsparse_index_base_b
                                        ; -- End function
	.set _ZN9rocsparseL16sddmm_ell_kernelILi512ELi8EDF16_llDF16_DF16_DF16_EEv20rocsparse_operation_S1_16rocsparse_order_S2_T3_S3_S3_T2_NS_24const_host_device_scalarIT1_EEPKT4_lPKT5_lS7_PT6_PKS3_21rocsparse_index_base_b.num_vgpr, 17
	.set _ZN9rocsparseL16sddmm_ell_kernelILi512ELi8EDF16_llDF16_DF16_DF16_EEv20rocsparse_operation_S1_16rocsparse_order_S2_T3_S3_S3_T2_NS_24const_host_device_scalarIT1_EEPKT4_lPKT5_lS7_PT6_PKS3_21rocsparse_index_base_b.num_agpr, 0
	.set _ZN9rocsparseL16sddmm_ell_kernelILi512ELi8EDF16_llDF16_DF16_DF16_EEv20rocsparse_operation_S1_16rocsparse_order_S2_T3_S3_S3_T2_NS_24const_host_device_scalarIT1_EEPKT4_lPKT5_lS7_PT6_PKS3_21rocsparse_index_base_b.numbered_sgpr, 24
	.set _ZN9rocsparseL16sddmm_ell_kernelILi512ELi8EDF16_llDF16_DF16_DF16_EEv20rocsparse_operation_S1_16rocsparse_order_S2_T3_S3_S3_T2_NS_24const_host_device_scalarIT1_EEPKT4_lPKT5_lS7_PT6_PKS3_21rocsparse_index_base_b.num_named_barrier, 0
	.set _ZN9rocsparseL16sddmm_ell_kernelILi512ELi8EDF16_llDF16_DF16_DF16_EEv20rocsparse_operation_S1_16rocsparse_order_S2_T3_S3_S3_T2_NS_24const_host_device_scalarIT1_EEPKT4_lPKT5_lS7_PT6_PKS3_21rocsparse_index_base_b.private_seg_size, 0
	.set _ZN9rocsparseL16sddmm_ell_kernelILi512ELi8EDF16_llDF16_DF16_DF16_EEv20rocsparse_operation_S1_16rocsparse_order_S2_T3_S3_S3_T2_NS_24const_host_device_scalarIT1_EEPKT4_lPKT5_lS7_PT6_PKS3_21rocsparse_index_base_b.uses_vcc, 1
	.set _ZN9rocsparseL16sddmm_ell_kernelILi512ELi8EDF16_llDF16_DF16_DF16_EEv20rocsparse_operation_S1_16rocsparse_order_S2_T3_S3_S3_T2_NS_24const_host_device_scalarIT1_EEPKT4_lPKT5_lS7_PT6_PKS3_21rocsparse_index_base_b.uses_flat_scratch, 0
	.set _ZN9rocsparseL16sddmm_ell_kernelILi512ELi8EDF16_llDF16_DF16_DF16_EEv20rocsparse_operation_S1_16rocsparse_order_S2_T3_S3_S3_T2_NS_24const_host_device_scalarIT1_EEPKT4_lPKT5_lS7_PT6_PKS3_21rocsparse_index_base_b.has_dyn_sized_stack, 0
	.set _ZN9rocsparseL16sddmm_ell_kernelILi512ELi8EDF16_llDF16_DF16_DF16_EEv20rocsparse_operation_S1_16rocsparse_order_S2_T3_S3_S3_T2_NS_24const_host_device_scalarIT1_EEPKT4_lPKT5_lS7_PT6_PKS3_21rocsparse_index_base_b.has_recursion, 0
	.set _ZN9rocsparseL16sddmm_ell_kernelILi512ELi8EDF16_llDF16_DF16_DF16_EEv20rocsparse_operation_S1_16rocsparse_order_S2_T3_S3_S3_T2_NS_24const_host_device_scalarIT1_EEPKT4_lPKT5_lS7_PT6_PKS3_21rocsparse_index_base_b.has_indirect_call, 0
	.section	.AMDGPU.csdata,"",@progbits
; Kernel info:
; codeLenInByte = 1840
; TotalNumSgprs: 28
; NumVgprs: 17
; ScratchSize: 0
; MemoryBound: 0
; FloatMode: 240
; IeeeMode: 1
; LDSByteSize: 1024 bytes/workgroup (compile time only)
; SGPRBlocks: 3
; VGPRBlocks: 4
; NumSGPRsForWavesPerEU: 28
; NumVGPRsForWavesPerEU: 17
; Occupancy: 10
; WaveLimiterHint : 0
; COMPUTE_PGM_RSRC2:SCRATCH_EN: 0
; COMPUTE_PGM_RSRC2:USER_SGPR: 6
; COMPUTE_PGM_RSRC2:TRAP_HANDLER: 0
; COMPUTE_PGM_RSRC2:TGID_X_EN: 1
; COMPUTE_PGM_RSRC2:TGID_Y_EN: 0
; COMPUTE_PGM_RSRC2:TGID_Z_EN: 0
; COMPUTE_PGM_RSRC2:TIDIG_COMP_CNT: 0
	.section	.text._ZN9rocsparseL16sddmm_ell_kernelILi512ELi4EDF16_llDF16_DF16_DF16_EEv20rocsparse_operation_S1_16rocsparse_order_S2_T3_S3_S3_T2_NS_24const_host_device_scalarIT1_EEPKT4_lPKT5_lS7_PT6_PKS3_21rocsparse_index_base_b,"axG",@progbits,_ZN9rocsparseL16sddmm_ell_kernelILi512ELi4EDF16_llDF16_DF16_DF16_EEv20rocsparse_operation_S1_16rocsparse_order_S2_T3_S3_S3_T2_NS_24const_host_device_scalarIT1_EEPKT4_lPKT5_lS7_PT6_PKS3_21rocsparse_index_base_b,comdat
	.globl	_ZN9rocsparseL16sddmm_ell_kernelILi512ELi4EDF16_llDF16_DF16_DF16_EEv20rocsparse_operation_S1_16rocsparse_order_S2_T3_S3_S3_T2_NS_24const_host_device_scalarIT1_EEPKT4_lPKT5_lS7_PT6_PKS3_21rocsparse_index_base_b ; -- Begin function _ZN9rocsparseL16sddmm_ell_kernelILi512ELi4EDF16_llDF16_DF16_DF16_EEv20rocsparse_operation_S1_16rocsparse_order_S2_T3_S3_S3_T2_NS_24const_host_device_scalarIT1_EEPKT4_lPKT5_lS7_PT6_PKS3_21rocsparse_index_base_b
	.p2align	8
	.type	_ZN9rocsparseL16sddmm_ell_kernelILi512ELi4EDF16_llDF16_DF16_DF16_EEv20rocsparse_operation_S1_16rocsparse_order_S2_T3_S3_S3_T2_NS_24const_host_device_scalarIT1_EEPKT4_lPKT5_lS7_PT6_PKS3_21rocsparse_index_base_b,@function
_ZN9rocsparseL16sddmm_ell_kernelILi512ELi4EDF16_llDF16_DF16_DF16_EEv20rocsparse_operation_S1_16rocsparse_order_S2_T3_S3_S3_T2_NS_24const_host_device_scalarIT1_EEPKT4_lPKT5_lS7_PT6_PKS3_21rocsparse_index_base_b: ; @_ZN9rocsparseL16sddmm_ell_kernelILi512ELi4EDF16_llDF16_DF16_DF16_EEv20rocsparse_operation_S1_16rocsparse_order_S2_T3_S3_S3_T2_NS_24const_host_device_scalarIT1_EEPKT4_lPKT5_lS7_PT6_PKS3_21rocsparse_index_base_b
; %bb.0:
	s_load_dwordx2 s[16:17], s[4:5], 0x70
	s_load_dwordx2 s[2:3], s[4:5], 0x30
	s_load_dwordx4 s[12:15], s[4:5], 0x50
	s_waitcnt lgkmcnt(0)
	s_bitcmp1_b32 s17, 0
	s_cselect_b64 s[8:9], -1, 0
	s_xor_b64 s[0:1], s[8:9], -1
	s_and_b64 vcc, exec, s[8:9]
	v_mov_b32_e32 v11, s2
	s_cbranch_vccnz .LBB33_2
; %bb.1:
	v_mov_b32_e32 v1, 0
	global_load_ushort v11, v1, s[2:3]
.LBB33_2:
	s_andn2_b64 vcc, exec, s[0:1]
	v_mov_b32_e32 v12, s14
	s_cbranch_vccnz .LBB33_4
; %bb.3:
	v_mov_b32_e32 v1, 0
	global_load_ushort v12, v1, s[14:15]
.LBB33_4:
	s_waitcnt vmcnt(0)
	v_cmp_eq_f16_e32 vcc, 0, v11
	v_cmp_eq_f16_e64 s[0:1], 1.0, v12
	s_and_b64 s[0:1], vcc, s[0:1]
	s_and_b64 vcc, exec, s[0:1]
	s_cbranch_vccnz .LBB33_37
; %bb.5:
	s_load_dwordx4 s[8:11], s[4:5], 0x20
	v_lshrrev_b32_e32 v13, 2, v0
	v_lshl_or_b32 v1, s6, 7, v13
	v_mov_b32_e32 v2, 0
	s_waitcnt lgkmcnt(0)
	v_cmp_gt_i64_e32 vcc, s[10:11], v[1:2]
	s_and_saveexec_b64 s[0:1], vcc
	s_cbranch_execz .LBB33_37
; %bb.6:
	s_load_dwordx2 s[10:11], s[4:5], 0x10
	s_load_dwordx2 s[6:7], s[4:5], 0x68
	s_mov_b32 s0, 0
                                        ; implicit-def: $vgpr7_vgpr8
	s_waitcnt lgkmcnt(0)
	s_mov_b32 s1, s11
	s_cmp_lg_u64 s[0:1], 0
	s_cselect_b64 s[0:1], -1, 0
	s_and_saveexec_b64 s[2:3], s[0:1]
	s_xor_b64 s[14:15], exec, s[2:3]
	s_cbranch_execz .LBB33_8
; %bb.7:
	s_ashr_i32 s0, s11, 31
	s_add_u32 s2, s10, s0
	s_mov_b32 s1, s0
	s_addc_u32 s3, s11, s0
	s_xor_b64 s[18:19], s[2:3], s[0:1]
	v_cvt_f32_u32_e32 v3, s18
	v_cvt_f32_u32_e32 v4, s19
	s_sub_u32 s2, 0, s18
	s_subb_u32 s3, 0, s19
	v_add_co_u32_e32 v7, vcc, 0, v1
	v_madmk_f32 v3, v4, 0x4f800000, v3
	v_rcp_f32_e32 v3, v3
	v_mul_f32_e32 v3, 0x5f7ffffc, v3
	v_mul_f32_e32 v4, 0x2f800000, v3
	v_trunc_f32_e32 v4, v4
	v_madmk_f32 v3, v4, 0xcf800000, v3
	v_cvt_u32_f32_e32 v4, v4
	v_cvt_u32_f32_e32 v3, v3
	v_readfirstlane_b32 s11, v4
	v_readfirstlane_b32 s0, v3
	s_mul_i32 s1, s2, s11
	s_mul_hi_u32 s20, s2, s0
	s_mul_i32 s17, s3, s0
	s_add_i32 s1, s20, s1
	s_add_i32 s1, s1, s17
	s_mul_i32 s21, s2, s0
	s_mul_i32 s20, s0, s1
	s_mul_hi_u32 s22, s0, s21
	s_mul_hi_u32 s17, s0, s1
	s_add_u32 s20, s22, s20
	s_addc_u32 s17, 0, s17
	s_mul_hi_u32 s23, s11, s21
	s_mul_i32 s21, s11, s21
	s_add_u32 s20, s20, s21
	s_mul_hi_u32 s22, s11, s1
	s_addc_u32 s17, s17, s23
	s_addc_u32 s20, s22, 0
	s_mul_i32 s1, s11, s1
	s_add_u32 s1, s17, s1
	s_addc_u32 s17, 0, s20
	s_add_u32 s20, s0, s1
	s_cselect_b64 s[0:1], -1, 0
	s_cmp_lg_u64 s[0:1], 0
	s_addc_u32 s11, s11, s17
	s_mul_i32 s0, s2, s11
	s_mul_hi_u32 s1, s2, s20
	s_add_i32 s0, s1, s0
	s_mul_i32 s3, s3, s20
	s_add_i32 s0, s0, s3
	s_mul_i32 s2, s2, s20
	s_mul_hi_u32 s3, s11, s2
	s_mul_i32 s17, s11, s2
	s_mul_i32 s22, s20, s0
	s_mul_hi_u32 s2, s20, s2
	s_mul_hi_u32 s21, s20, s0
	s_add_u32 s2, s2, s22
	s_addc_u32 s21, 0, s21
	s_add_u32 s2, s2, s17
	s_mul_hi_u32 s1, s11, s0
	s_addc_u32 s2, s21, s3
	s_addc_u32 s1, s1, 0
	s_mul_i32 s0, s11, s0
	s_add_u32 s0, s2, s0
	s_addc_u32 s2, 0, s1
	s_add_u32 s3, s20, s0
	s_cselect_b64 s[0:1], -1, 0
	s_cmp_lg_u64 s[0:1], 0
	s_addc_u32 s2, s11, s2
	v_mad_u64_u32 v[3:4], s[0:1], v7, s2, 0
	v_mul_hi_u32 v5, v7, s3
	v_addc_co_u32_e64 v8, s[0:1], 0, 0, vcc
	v_add_co_u32_e32 v9, vcc, v5, v3
	v_addc_co_u32_e32 v10, vcc, 0, v4, vcc
	v_mad_u64_u32 v[3:4], s[0:1], v8, s3, 0
	v_mad_u64_u32 v[5:6], s[0:1], v8, s2, 0
	v_add_co_u32_e32 v3, vcc, v9, v3
	v_addc_co_u32_e32 v3, vcc, v10, v4, vcc
	v_addc_co_u32_e32 v4, vcc, 0, v6, vcc
	v_add_co_u32_e32 v3, vcc, v3, v5
	v_addc_co_u32_e32 v4, vcc, 0, v4, vcc
	v_mul_lo_u32 v5, s19, v3
	v_mul_lo_u32 v6, s18, v4
	v_mad_u64_u32 v[3:4], s[0:1], s18, v3, 0
	v_add3_u32 v4, v4, v6, v5
	v_sub_u32_e32 v5, v8, v4
	v_mov_b32_e32 v6, s19
	v_sub_co_u32_e32 v3, vcc, v7, v3
	v_subb_co_u32_e64 v5, s[0:1], v5, v6, vcc
	v_subrev_co_u32_e64 v7, s[0:1], s18, v3
	v_subbrev_co_u32_e64 v9, s[2:3], 0, v5, s[0:1]
	v_cmp_le_u32_e64 s[2:3], s19, v9
	v_cndmask_b32_e64 v10, 0, -1, s[2:3]
	v_cmp_le_u32_e64 s[2:3], s18, v7
	v_subb_co_u32_e64 v5, s[0:1], v5, v6, s[0:1]
	v_cndmask_b32_e64 v14, 0, -1, s[2:3]
	v_cmp_eq_u32_e64 s[2:3], s19, v9
	v_subrev_co_u32_e64 v6, s[0:1], s18, v7
	v_subb_co_u32_e32 v4, vcc, v8, v4, vcc
	v_cndmask_b32_e64 v10, v10, v14, s[2:3]
	v_subbrev_co_u32_e64 v5, s[0:1], 0, v5, s[0:1]
	v_cmp_le_u32_e32 vcc, s19, v4
	v_cmp_ne_u32_e64 s[0:1], 0, v10
	v_cndmask_b32_e64 v8, 0, -1, vcc
	v_cmp_le_u32_e32 vcc, s18, v3
	v_cndmask_b32_e64 v5, v9, v5, s[0:1]
	v_cndmask_b32_e64 v9, 0, -1, vcc
	v_cmp_eq_u32_e32 vcc, s19, v4
	v_cndmask_b32_e32 v8, v8, v9, vcc
	v_cmp_ne_u32_e32 vcc, 0, v8
	v_cndmask_b32_e32 v4, v4, v5, vcc
	v_cndmask_b32_e64 v5, v7, v6, s[0:1]
	v_cndmask_b32_e32 v3, v3, v5, vcc
	v_subrev_co_u32_e32 v7, vcc, 0, v3
	v_subbrev_co_u32_e32 v8, vcc, 0, v4, vcc
.LBB33_8:
	s_andn2_saveexec_b64 s[0:1], s[14:15]
	s_cbranch_execz .LBB33_10
; %bb.9:
	v_cvt_f32_u32_e32 v3, s10
	s_sub_i32 s2, 0, s10
	v_mov_b32_e32 v8, 0
	v_rcp_iflag_f32_e32 v3, v3
	v_mul_f32_e32 v3, 0x4f7ffffe, v3
	v_cvt_u32_f32_e32 v3, v3
	v_mul_lo_u32 v4, s2, v3
	v_mul_hi_u32 v4, v3, v4
	v_add_u32_e32 v3, v3, v4
	v_mul_hi_u32 v3, v1, v3
	v_mul_lo_u32 v3, v3, s10
	v_sub_u32_e32 v3, v1, v3
	v_subrev_u32_e32 v4, s10, v3
	v_cmp_le_u32_e32 vcc, s10, v3
	v_cndmask_b32_e32 v3, v3, v4, vcc
	v_subrev_u32_e32 v4, s10, v3
	v_cmp_le_u32_e32 vcc, s10, v3
	v_cndmask_b32_e32 v7, v3, v4, vcc
.LBB33_10:
	s_or_b64 exec, exec, s[0:1]
	v_lshlrev_b64 v[3:4], 3, v[1:2]
	v_mov_b32_e32 v5, s7
	v_add_co_u32_e32 v3, vcc, s6, v3
	v_addc_co_u32_e32 v4, vcc, v5, v4, vcc
	global_load_dwordx2 v[3:4], v[3:4], off
	s_mov_b64 s[18:19], -1
	s_waitcnt vmcnt(0)
	v_subrev_co_u32_e32 v5, vcc, s16, v3
	v_subbrev_co_u32_e32 v6, vcc, 0, v4, vcc
	v_cmp_lt_i64_e32 vcc, -1, v[5:6]
	s_and_b64 exec, exec, vcc
	s_cbranch_execz .LBB33_37
; %bb.11:
	s_load_dwordx4 s[0:3], s[4:5], 0x0
	s_load_dwordx2 s[6:7], s[4:5], 0x40
                                        ; implicit-def: $vgpr3_vgpr4
	s_waitcnt lgkmcnt(0)
	s_cmp_eq_u32 s2, 1
	s_cselect_b64 s[10:11], -1, 0
	s_cmpk_eq_i32 s0, 0x6f
	s_cselect_b64 s[14:15], -1, 0
	s_cmpk_lg_i32 s0, 0x6f
	s_cselect_b64 s[16:17], -1, 0
	s_cmp_lg_u32 s2, 1
	s_cbranch_scc0 .LBB33_15
; %bb.12:
	v_mov_b32_e32 v3, v7
	s_andn2_b64 vcc, exec, s[14:15]
	v_mov_b32_e32 v4, v8
	s_cbranch_vccnz .LBB33_14
; %bb.13:
	v_mul_lo_u32 v9, v8, s6
	v_mul_lo_u32 v10, v7, s7
	v_mad_u64_u32 v[3:4], s[18:19], v7, s6, 0
	v_add3_u32 v4, v4, v10, v9
.LBB33_14:
	s_mov_b64 s[18:19], 0
.LBB33_15:
	s_andn2_b64 vcc, exec, s[18:19]
	s_cbranch_vccnz .LBB33_19
; %bb.16:
	s_andn2_b64 vcc, exec, s[16:17]
	s_cbranch_vccnz .LBB33_18
; %bb.17:
	v_mul_lo_u32 v3, v8, s6
	v_mul_lo_u32 v4, v7, s7
	v_mad_u64_u32 v[7:8], s[16:17], v7, s6, 0
	v_add3_u32 v8, v8, v4, v3
.LBB33_18:
	v_mov_b32_e32 v3, v7
	v_mov_b32_e32 v4, v8
.LBB33_19:
	s_cmp_eq_u32 s3, 1
	s_cselect_b64 s[18:19], -1, 0
	s_cmpk_eq_i32 s1, 0x6f
	s_cselect_b64 s[20:21], -1, 0
	s_cmpk_lg_i32 s1, 0x6f
	s_cselect_b64 s[0:1], -1, 0
	s_cmp_lg_u32 s3, 1
	s_cbranch_scc0 .LBB33_23
; %bb.20:
	v_mov_b32_e32 v8, v6
	s_andn2_b64 vcc, exec, s[0:1]
	v_mov_b32_e32 v7, v5
	s_cbranch_vccnz .LBB33_22
; %bb.21:
	v_mul_lo_u32 v9, v6, s12
	v_mul_lo_u32 v10, v5, s13
	v_mad_u64_u32 v[7:8], s[0:1], v5, s12, 0
	v_add3_u32 v8, v8, v10, v9
.LBB33_22:
	s_cbranch_execz .LBB33_24
	s_branch .LBB33_27
.LBB33_23:
                                        ; implicit-def: $vgpr7_vgpr8
.LBB33_24:
	s_andn2_b64 vcc, exec, s[20:21]
	s_cbranch_vccnz .LBB33_26
; %bb.25:
	v_mul_lo_u32 v7, v6, s12
	v_mul_lo_u32 v8, v5, s13
	v_mad_u64_u32 v[5:6], s[0:1], v5, s12, 0
	v_add3_u32 v6, v6, v8, v7
.LBB33_26:
	v_mov_b32_e32 v8, v6
	v_mov_b32_e32 v7, v5
.LBB33_27:
	s_load_dwordx2 s[2:3], s[4:5], 0x60
	v_and_b32_e32 v5, 3, v0
	v_mov_b32_e32 v6, 0
	v_cmp_gt_i64_e32 vcc, s[8:9], v[5:6]
	s_and_saveexec_b64 s[16:17], vcc
	s_cbranch_execz .LBB33_31
; %bb.28:
	s_xor_b64 s[0:1], s[14:15], s[10:11]
	s_and_b64 s[0:1], s[0:1], exec
	s_cselect_b32 s1, 0, s7
	s_cselect_b32 s0, 1, s6
	s_xor_b64 s[6:7], s[20:21], s[18:19]
	s_and_b64 s[6:7], s[6:7], exec
	s_cselect_b32 s6, s12, 1
	v_mad_u64_u32 v[9:10], s[10:11], s6, v5, 0
	s_cselect_b32 s7, s13, 0
	v_lshlrev_b64 v[7:8], 1, v[7:8]
	v_mov_b32_e32 v0, v10
	v_mad_u64_u32 v[14:15], s[10:11], s7, v5, v[0:1]
	s_load_dwordx2 s[10:11], s[4:5], 0x38
	s_load_dwordx2 s[12:13], s[4:5], 0x48
	v_lshlrev_b64 v[3:4], 1, v[3:4]
	v_mov_b32_e32 v10, v14
	v_mad_u64_u32 v[14:15], s[4:5], s0, v5, 0
	v_lshlrev_b64 v[9:10], 1, v[9:10]
	s_waitcnt lgkmcnt(0)
	v_mov_b32_e32 v16, s13
	v_add_co_u32_e32 v7, vcc, v9, v7
	v_mov_b32_e32 v0, v15
	v_addc_co_u32_e32 v8, vcc, v10, v8, vcc
	v_mad_u64_u32 v[9:10], s[4:5], s1, v5, v[0:1]
	v_add_co_u32_e32 v7, vcc, s12, v7
	v_mov_b32_e32 v15, v9
	v_lshlrev_b64 v[9:10], 1, v[14:15]
	v_addc_co_u32_e32 v8, vcc, v16, v8, vcc
	v_add_co_u32_e32 v0, vcc, v9, v3
	v_addc_co_u32_e32 v4, vcc, v10, v4, vcc
	v_mov_b32_e32 v9, s11
	v_add_co_u32_e32 v3, vcc, s10, v0
	v_addc_co_u32_e32 v4, vcc, v9, v4, vcc
	v_mov_b32_e32 v0, 0
	v_mov_b32_e32 v10, v6
	s_lshl_b64 s[4:5], s[6:7], 3
	s_lshl_b64 s[6:7], s[0:1], 3
	s_mov_b64 s[10:11], 0
	v_mov_b32_e32 v9, v5
	v_mov_b32_e32 v6, v0
.LBB33_29:                              ; =>This Inner Loop Header: Depth=1
	global_load_ushort v0, v[3:4], off
	global_load_ushort v14, v[7:8], off
	v_add_co_u32_e32 v9, vcc, 4, v9
	v_mov_b32_e32 v15, s5
	v_add_co_u32_e64 v7, s[0:1], s4, v7
	v_addc_co_u32_e32 v10, vcc, 0, v10, vcc
	v_addc_co_u32_e64 v8, s[0:1], v8, v15, s[0:1]
	v_cmp_le_i64_e64 s[0:1], s[8:9], v[9:10]
	v_mov_b32_e32 v16, s7
	v_add_co_u32_e32 v3, vcc, s6, v3
	v_addc_co_u32_e32 v4, vcc, v4, v16, vcc
	s_or_b64 s[10:11], s[0:1], s[10:11]
	s_waitcnt vmcnt(0)
	v_fma_f16 v6, v0, v14, v6
	s_andn2_b64 exec, exec, s[10:11]
	s_cbranch_execnz .LBB33_29
; %bb.30:
	s_or_b64 exec, exec, s[10:11]
.LBB33_31:
	s_or_b64 exec, exec, s[16:17]
	v_lshlrev_b32_e32 v0, 3, v13
	v_lshl_or_b32 v3, v5, 1, v0
	v_cmp_gt_u32_e32 vcc, 2, v5
	ds_write_b16 v3, v6
	s_waitcnt lgkmcnt(0)
	s_barrier
	s_and_saveexec_b64 s[0:1], vcc
	s_cbranch_execz .LBB33_33
; %bb.32:
	ds_read_u16 v4, v3
	ds_read_u16 v6, v3 offset:4
	s_waitcnt lgkmcnt(0)
	v_add_f16_e32 v4, v6, v4
	ds_write_b16 v3, v4
.LBB33_33:
	s_or_b64 exec, exec, s[0:1]
	v_cmp_eq_u32_e32 vcc, 0, v5
	s_waitcnt lgkmcnt(0)
	s_barrier
	s_and_saveexec_b64 s[0:1], vcc
	s_cbranch_execz .LBB33_35
; %bb.34:
	ds_read_u16 v4, v3
	ds_read_u16 v5, v3 offset:2
	s_waitcnt lgkmcnt(0)
	v_add_f16_e32 v4, v5, v4
	ds_write_b16 v3, v4
.LBB33_35:
	s_or_b64 exec, exec, s[0:1]
	s_waitcnt lgkmcnt(0)
	s_barrier
	s_and_b64 exec, exec, vcc
	s_cbranch_execz .LBB33_37
; %bb.36:
	v_lshlrev_b64 v[1:2], 1, v[1:2]
	v_mov_b32_e32 v3, s3
	v_add_co_u32_e32 v1, vcc, s2, v1
	v_addc_co_u32_e32 v2, vcc, v3, v2, vcc
	global_load_ushort v3, v[1:2], off
	ds_read_u16 v0, v0
	s_waitcnt lgkmcnt(0)
	v_mul_f16_e32 v0, v11, v0
	s_waitcnt vmcnt(0)
	v_fma_f16 v0, v12, v3, v0
	global_store_short v[1:2], v0, off
.LBB33_37:
	s_endpgm
	.section	.rodata,"a",@progbits
	.p2align	6, 0x0
	.amdhsa_kernel _ZN9rocsparseL16sddmm_ell_kernelILi512ELi4EDF16_llDF16_DF16_DF16_EEv20rocsparse_operation_S1_16rocsparse_order_S2_T3_S3_S3_T2_NS_24const_host_device_scalarIT1_EEPKT4_lPKT5_lS7_PT6_PKS3_21rocsparse_index_base_b
		.amdhsa_group_segment_fixed_size 1024
		.amdhsa_private_segment_fixed_size 0
		.amdhsa_kernarg_size 120
		.amdhsa_user_sgpr_count 6
		.amdhsa_user_sgpr_private_segment_buffer 1
		.amdhsa_user_sgpr_dispatch_ptr 0
		.amdhsa_user_sgpr_queue_ptr 0
		.amdhsa_user_sgpr_kernarg_segment_ptr 1
		.amdhsa_user_sgpr_dispatch_id 0
		.amdhsa_user_sgpr_flat_scratch_init 0
		.amdhsa_user_sgpr_private_segment_size 0
		.amdhsa_uses_dynamic_stack 0
		.amdhsa_system_sgpr_private_segment_wavefront_offset 0
		.amdhsa_system_sgpr_workgroup_id_x 1
		.amdhsa_system_sgpr_workgroup_id_y 0
		.amdhsa_system_sgpr_workgroup_id_z 0
		.amdhsa_system_sgpr_workgroup_info 0
		.amdhsa_system_vgpr_workitem_id 0
		.amdhsa_next_free_vgpr 17
		.amdhsa_next_free_sgpr 24
		.amdhsa_reserve_vcc 1
		.amdhsa_reserve_flat_scratch 0
		.amdhsa_float_round_mode_32 0
		.amdhsa_float_round_mode_16_64 0
		.amdhsa_float_denorm_mode_32 3
		.amdhsa_float_denorm_mode_16_64 3
		.amdhsa_dx10_clamp 1
		.amdhsa_ieee_mode 1
		.amdhsa_fp16_overflow 0
		.amdhsa_exception_fp_ieee_invalid_op 0
		.amdhsa_exception_fp_denorm_src 0
		.amdhsa_exception_fp_ieee_div_zero 0
		.amdhsa_exception_fp_ieee_overflow 0
		.amdhsa_exception_fp_ieee_underflow 0
		.amdhsa_exception_fp_ieee_inexact 0
		.amdhsa_exception_int_div_zero 0
	.end_amdhsa_kernel
	.section	.text._ZN9rocsparseL16sddmm_ell_kernelILi512ELi4EDF16_llDF16_DF16_DF16_EEv20rocsparse_operation_S1_16rocsparse_order_S2_T3_S3_S3_T2_NS_24const_host_device_scalarIT1_EEPKT4_lPKT5_lS7_PT6_PKS3_21rocsparse_index_base_b,"axG",@progbits,_ZN9rocsparseL16sddmm_ell_kernelILi512ELi4EDF16_llDF16_DF16_DF16_EEv20rocsparse_operation_S1_16rocsparse_order_S2_T3_S3_S3_T2_NS_24const_host_device_scalarIT1_EEPKT4_lPKT5_lS7_PT6_PKS3_21rocsparse_index_base_b,comdat
.Lfunc_end33:
	.size	_ZN9rocsparseL16sddmm_ell_kernelILi512ELi4EDF16_llDF16_DF16_DF16_EEv20rocsparse_operation_S1_16rocsparse_order_S2_T3_S3_S3_T2_NS_24const_host_device_scalarIT1_EEPKT4_lPKT5_lS7_PT6_PKS3_21rocsparse_index_base_b, .Lfunc_end33-_ZN9rocsparseL16sddmm_ell_kernelILi512ELi4EDF16_llDF16_DF16_DF16_EEv20rocsparse_operation_S1_16rocsparse_order_S2_T3_S3_S3_T2_NS_24const_host_device_scalarIT1_EEPKT4_lPKT5_lS7_PT6_PKS3_21rocsparse_index_base_b
                                        ; -- End function
	.set _ZN9rocsparseL16sddmm_ell_kernelILi512ELi4EDF16_llDF16_DF16_DF16_EEv20rocsparse_operation_S1_16rocsparse_order_S2_T3_S3_S3_T2_NS_24const_host_device_scalarIT1_EEPKT4_lPKT5_lS7_PT6_PKS3_21rocsparse_index_base_b.num_vgpr, 17
	.set _ZN9rocsparseL16sddmm_ell_kernelILi512ELi4EDF16_llDF16_DF16_DF16_EEv20rocsparse_operation_S1_16rocsparse_order_S2_T3_S3_S3_T2_NS_24const_host_device_scalarIT1_EEPKT4_lPKT5_lS7_PT6_PKS3_21rocsparse_index_base_b.num_agpr, 0
	.set _ZN9rocsparseL16sddmm_ell_kernelILi512ELi4EDF16_llDF16_DF16_DF16_EEv20rocsparse_operation_S1_16rocsparse_order_S2_T3_S3_S3_T2_NS_24const_host_device_scalarIT1_EEPKT4_lPKT5_lS7_PT6_PKS3_21rocsparse_index_base_b.numbered_sgpr, 24
	.set _ZN9rocsparseL16sddmm_ell_kernelILi512ELi4EDF16_llDF16_DF16_DF16_EEv20rocsparse_operation_S1_16rocsparse_order_S2_T3_S3_S3_T2_NS_24const_host_device_scalarIT1_EEPKT4_lPKT5_lS7_PT6_PKS3_21rocsparse_index_base_b.num_named_barrier, 0
	.set _ZN9rocsparseL16sddmm_ell_kernelILi512ELi4EDF16_llDF16_DF16_DF16_EEv20rocsparse_operation_S1_16rocsparse_order_S2_T3_S3_S3_T2_NS_24const_host_device_scalarIT1_EEPKT4_lPKT5_lS7_PT6_PKS3_21rocsparse_index_base_b.private_seg_size, 0
	.set _ZN9rocsparseL16sddmm_ell_kernelILi512ELi4EDF16_llDF16_DF16_DF16_EEv20rocsparse_operation_S1_16rocsparse_order_S2_T3_S3_S3_T2_NS_24const_host_device_scalarIT1_EEPKT4_lPKT5_lS7_PT6_PKS3_21rocsparse_index_base_b.uses_vcc, 1
	.set _ZN9rocsparseL16sddmm_ell_kernelILi512ELi4EDF16_llDF16_DF16_DF16_EEv20rocsparse_operation_S1_16rocsparse_order_S2_T3_S3_S3_T2_NS_24const_host_device_scalarIT1_EEPKT4_lPKT5_lS7_PT6_PKS3_21rocsparse_index_base_b.uses_flat_scratch, 0
	.set _ZN9rocsparseL16sddmm_ell_kernelILi512ELi4EDF16_llDF16_DF16_DF16_EEv20rocsparse_operation_S1_16rocsparse_order_S2_T3_S3_S3_T2_NS_24const_host_device_scalarIT1_EEPKT4_lPKT5_lS7_PT6_PKS3_21rocsparse_index_base_b.has_dyn_sized_stack, 0
	.set _ZN9rocsparseL16sddmm_ell_kernelILi512ELi4EDF16_llDF16_DF16_DF16_EEv20rocsparse_operation_S1_16rocsparse_order_S2_T3_S3_S3_T2_NS_24const_host_device_scalarIT1_EEPKT4_lPKT5_lS7_PT6_PKS3_21rocsparse_index_base_b.has_recursion, 0
	.set _ZN9rocsparseL16sddmm_ell_kernelILi512ELi4EDF16_llDF16_DF16_DF16_EEv20rocsparse_operation_S1_16rocsparse_order_S2_T3_S3_S3_T2_NS_24const_host_device_scalarIT1_EEPKT4_lPKT5_lS7_PT6_PKS3_21rocsparse_index_base_b.has_indirect_call, 0
	.section	.AMDGPU.csdata,"",@progbits
; Kernel info:
; codeLenInByte = 1784
; TotalNumSgprs: 28
; NumVgprs: 17
; ScratchSize: 0
; MemoryBound: 0
; FloatMode: 240
; IeeeMode: 1
; LDSByteSize: 1024 bytes/workgroup (compile time only)
; SGPRBlocks: 3
; VGPRBlocks: 4
; NumSGPRsForWavesPerEU: 28
; NumVGPRsForWavesPerEU: 17
; Occupancy: 10
; WaveLimiterHint : 0
; COMPUTE_PGM_RSRC2:SCRATCH_EN: 0
; COMPUTE_PGM_RSRC2:USER_SGPR: 6
; COMPUTE_PGM_RSRC2:TRAP_HANDLER: 0
; COMPUTE_PGM_RSRC2:TGID_X_EN: 1
; COMPUTE_PGM_RSRC2:TGID_Y_EN: 0
; COMPUTE_PGM_RSRC2:TGID_Z_EN: 0
; COMPUTE_PGM_RSRC2:TIDIG_COMP_CNT: 0
	.section	.text._ZN9rocsparseL16sddmm_ell_kernelILi512ELi2EDF16_llDF16_DF16_DF16_EEv20rocsparse_operation_S1_16rocsparse_order_S2_T3_S3_S3_T2_NS_24const_host_device_scalarIT1_EEPKT4_lPKT5_lS7_PT6_PKS3_21rocsparse_index_base_b,"axG",@progbits,_ZN9rocsparseL16sddmm_ell_kernelILi512ELi2EDF16_llDF16_DF16_DF16_EEv20rocsparse_operation_S1_16rocsparse_order_S2_T3_S3_S3_T2_NS_24const_host_device_scalarIT1_EEPKT4_lPKT5_lS7_PT6_PKS3_21rocsparse_index_base_b,comdat
	.globl	_ZN9rocsparseL16sddmm_ell_kernelILi512ELi2EDF16_llDF16_DF16_DF16_EEv20rocsparse_operation_S1_16rocsparse_order_S2_T3_S3_S3_T2_NS_24const_host_device_scalarIT1_EEPKT4_lPKT5_lS7_PT6_PKS3_21rocsparse_index_base_b ; -- Begin function _ZN9rocsparseL16sddmm_ell_kernelILi512ELi2EDF16_llDF16_DF16_DF16_EEv20rocsparse_operation_S1_16rocsparse_order_S2_T3_S3_S3_T2_NS_24const_host_device_scalarIT1_EEPKT4_lPKT5_lS7_PT6_PKS3_21rocsparse_index_base_b
	.p2align	8
	.type	_ZN9rocsparseL16sddmm_ell_kernelILi512ELi2EDF16_llDF16_DF16_DF16_EEv20rocsparse_operation_S1_16rocsparse_order_S2_T3_S3_S3_T2_NS_24const_host_device_scalarIT1_EEPKT4_lPKT5_lS7_PT6_PKS3_21rocsparse_index_base_b,@function
_ZN9rocsparseL16sddmm_ell_kernelILi512ELi2EDF16_llDF16_DF16_DF16_EEv20rocsparse_operation_S1_16rocsparse_order_S2_T3_S3_S3_T2_NS_24const_host_device_scalarIT1_EEPKT4_lPKT5_lS7_PT6_PKS3_21rocsparse_index_base_b: ; @_ZN9rocsparseL16sddmm_ell_kernelILi512ELi2EDF16_llDF16_DF16_DF16_EEv20rocsparse_operation_S1_16rocsparse_order_S2_T3_S3_S3_T2_NS_24const_host_device_scalarIT1_EEPKT4_lPKT5_lS7_PT6_PKS3_21rocsparse_index_base_b
; %bb.0:
	s_load_dwordx2 s[16:17], s[4:5], 0x70
	s_load_dwordx2 s[2:3], s[4:5], 0x30
	s_load_dwordx4 s[12:15], s[4:5], 0x50
	s_waitcnt lgkmcnt(0)
	s_bitcmp1_b32 s17, 0
	s_cselect_b64 s[8:9], -1, 0
	s_xor_b64 s[0:1], s[8:9], -1
	s_and_b64 vcc, exec, s[8:9]
	v_mov_b32_e32 v11, s2
	s_cbranch_vccnz .LBB34_2
; %bb.1:
	v_mov_b32_e32 v1, 0
	global_load_ushort v11, v1, s[2:3]
.LBB34_2:
	s_andn2_b64 vcc, exec, s[0:1]
	v_mov_b32_e32 v12, s14
	s_cbranch_vccnz .LBB34_4
; %bb.3:
	v_mov_b32_e32 v1, 0
	global_load_ushort v12, v1, s[14:15]
.LBB34_4:
	s_waitcnt vmcnt(0)
	v_cmp_eq_f16_e32 vcc, 0, v11
	v_cmp_eq_f16_e64 s[0:1], 1.0, v12
	s_and_b64 s[0:1], vcc, s[0:1]
	s_and_b64 vcc, exec, s[0:1]
	s_cbranch_vccnz .LBB34_35
; %bb.5:
	s_load_dwordx4 s[8:11], s[4:5], 0x20
	v_lshrrev_b32_e32 v13, 1, v0
	v_lshl_or_b32 v1, s6, 8, v13
	v_mov_b32_e32 v2, 0
	s_waitcnt lgkmcnt(0)
	v_cmp_gt_i64_e32 vcc, s[10:11], v[1:2]
	s_and_saveexec_b64 s[0:1], vcc
	s_cbranch_execz .LBB34_35
; %bb.6:
	s_load_dwordx2 s[10:11], s[4:5], 0x10
	s_load_dwordx2 s[6:7], s[4:5], 0x68
	s_mov_b32 s0, 0
                                        ; implicit-def: $vgpr7_vgpr8
	s_waitcnt lgkmcnt(0)
	s_mov_b32 s1, s11
	s_cmp_lg_u64 s[0:1], 0
	s_cselect_b64 s[0:1], -1, 0
	s_and_saveexec_b64 s[2:3], s[0:1]
	s_xor_b64 s[14:15], exec, s[2:3]
	s_cbranch_execz .LBB34_8
; %bb.7:
	s_ashr_i32 s0, s11, 31
	s_add_u32 s2, s10, s0
	s_mov_b32 s1, s0
	s_addc_u32 s3, s11, s0
	s_xor_b64 s[18:19], s[2:3], s[0:1]
	v_cvt_f32_u32_e32 v3, s18
	v_cvt_f32_u32_e32 v4, s19
	s_sub_u32 s2, 0, s18
	s_subb_u32 s3, 0, s19
	v_add_co_u32_e32 v7, vcc, 0, v1
	v_madmk_f32 v3, v4, 0x4f800000, v3
	v_rcp_f32_e32 v3, v3
	v_mul_f32_e32 v3, 0x5f7ffffc, v3
	v_mul_f32_e32 v4, 0x2f800000, v3
	v_trunc_f32_e32 v4, v4
	v_madmk_f32 v3, v4, 0xcf800000, v3
	v_cvt_u32_f32_e32 v4, v4
	v_cvt_u32_f32_e32 v3, v3
	v_readfirstlane_b32 s11, v4
	v_readfirstlane_b32 s0, v3
	s_mul_i32 s1, s2, s11
	s_mul_hi_u32 s20, s2, s0
	s_mul_i32 s17, s3, s0
	s_add_i32 s1, s20, s1
	s_add_i32 s1, s1, s17
	s_mul_i32 s21, s2, s0
	s_mul_i32 s20, s0, s1
	s_mul_hi_u32 s22, s0, s21
	s_mul_hi_u32 s17, s0, s1
	s_add_u32 s20, s22, s20
	s_addc_u32 s17, 0, s17
	s_mul_hi_u32 s23, s11, s21
	s_mul_i32 s21, s11, s21
	s_add_u32 s20, s20, s21
	s_mul_hi_u32 s22, s11, s1
	s_addc_u32 s17, s17, s23
	s_addc_u32 s20, s22, 0
	s_mul_i32 s1, s11, s1
	s_add_u32 s1, s17, s1
	s_addc_u32 s17, 0, s20
	s_add_u32 s20, s0, s1
	s_cselect_b64 s[0:1], -1, 0
	s_cmp_lg_u64 s[0:1], 0
	s_addc_u32 s11, s11, s17
	s_mul_i32 s0, s2, s11
	s_mul_hi_u32 s1, s2, s20
	s_add_i32 s0, s1, s0
	s_mul_i32 s3, s3, s20
	s_add_i32 s0, s0, s3
	s_mul_i32 s2, s2, s20
	s_mul_hi_u32 s3, s11, s2
	s_mul_i32 s17, s11, s2
	s_mul_i32 s22, s20, s0
	s_mul_hi_u32 s2, s20, s2
	s_mul_hi_u32 s21, s20, s0
	s_add_u32 s2, s2, s22
	s_addc_u32 s21, 0, s21
	s_add_u32 s2, s2, s17
	s_mul_hi_u32 s1, s11, s0
	s_addc_u32 s2, s21, s3
	s_addc_u32 s1, s1, 0
	s_mul_i32 s0, s11, s0
	s_add_u32 s0, s2, s0
	s_addc_u32 s2, 0, s1
	s_add_u32 s3, s20, s0
	s_cselect_b64 s[0:1], -1, 0
	s_cmp_lg_u64 s[0:1], 0
	s_addc_u32 s2, s11, s2
	v_mad_u64_u32 v[3:4], s[0:1], v7, s2, 0
	v_mul_hi_u32 v5, v7, s3
	v_addc_co_u32_e64 v8, s[0:1], 0, 0, vcc
	v_add_co_u32_e32 v9, vcc, v5, v3
	v_addc_co_u32_e32 v10, vcc, 0, v4, vcc
	v_mad_u64_u32 v[3:4], s[0:1], v8, s3, 0
	v_mad_u64_u32 v[5:6], s[0:1], v8, s2, 0
	v_add_co_u32_e32 v3, vcc, v9, v3
	v_addc_co_u32_e32 v3, vcc, v10, v4, vcc
	v_addc_co_u32_e32 v4, vcc, 0, v6, vcc
	v_add_co_u32_e32 v3, vcc, v3, v5
	v_addc_co_u32_e32 v4, vcc, 0, v4, vcc
	v_mul_lo_u32 v5, s19, v3
	v_mul_lo_u32 v6, s18, v4
	v_mad_u64_u32 v[3:4], s[0:1], s18, v3, 0
	v_add3_u32 v4, v4, v6, v5
	v_sub_u32_e32 v5, v8, v4
	v_mov_b32_e32 v6, s19
	v_sub_co_u32_e32 v3, vcc, v7, v3
	v_subb_co_u32_e64 v5, s[0:1], v5, v6, vcc
	v_subrev_co_u32_e64 v7, s[0:1], s18, v3
	v_subbrev_co_u32_e64 v9, s[2:3], 0, v5, s[0:1]
	v_cmp_le_u32_e64 s[2:3], s19, v9
	v_cndmask_b32_e64 v10, 0, -1, s[2:3]
	v_cmp_le_u32_e64 s[2:3], s18, v7
	v_subb_co_u32_e64 v5, s[0:1], v5, v6, s[0:1]
	v_cndmask_b32_e64 v14, 0, -1, s[2:3]
	v_cmp_eq_u32_e64 s[2:3], s19, v9
	v_subrev_co_u32_e64 v6, s[0:1], s18, v7
	v_subb_co_u32_e32 v4, vcc, v8, v4, vcc
	v_cndmask_b32_e64 v10, v10, v14, s[2:3]
	v_subbrev_co_u32_e64 v5, s[0:1], 0, v5, s[0:1]
	v_cmp_le_u32_e32 vcc, s19, v4
	v_cmp_ne_u32_e64 s[0:1], 0, v10
	v_cndmask_b32_e64 v8, 0, -1, vcc
	v_cmp_le_u32_e32 vcc, s18, v3
	v_cndmask_b32_e64 v5, v9, v5, s[0:1]
	v_cndmask_b32_e64 v9, 0, -1, vcc
	v_cmp_eq_u32_e32 vcc, s19, v4
	v_cndmask_b32_e32 v8, v8, v9, vcc
	v_cmp_ne_u32_e32 vcc, 0, v8
	v_cndmask_b32_e32 v4, v4, v5, vcc
	v_cndmask_b32_e64 v5, v7, v6, s[0:1]
	v_cndmask_b32_e32 v3, v3, v5, vcc
	v_subrev_co_u32_e32 v7, vcc, 0, v3
	v_subbrev_co_u32_e32 v8, vcc, 0, v4, vcc
.LBB34_8:
	s_andn2_saveexec_b64 s[0:1], s[14:15]
	s_cbranch_execz .LBB34_10
; %bb.9:
	v_cvt_f32_u32_e32 v3, s10
	s_sub_i32 s2, 0, s10
	v_mov_b32_e32 v8, 0
	v_rcp_iflag_f32_e32 v3, v3
	v_mul_f32_e32 v3, 0x4f7ffffe, v3
	v_cvt_u32_f32_e32 v3, v3
	v_mul_lo_u32 v4, s2, v3
	v_mul_hi_u32 v4, v3, v4
	v_add_u32_e32 v3, v3, v4
	v_mul_hi_u32 v3, v1, v3
	v_mul_lo_u32 v3, v3, s10
	v_sub_u32_e32 v3, v1, v3
	v_subrev_u32_e32 v4, s10, v3
	v_cmp_le_u32_e32 vcc, s10, v3
	v_cndmask_b32_e32 v3, v3, v4, vcc
	v_subrev_u32_e32 v4, s10, v3
	v_cmp_le_u32_e32 vcc, s10, v3
	v_cndmask_b32_e32 v7, v3, v4, vcc
.LBB34_10:
	s_or_b64 exec, exec, s[0:1]
	v_lshlrev_b64 v[3:4], 3, v[1:2]
	v_mov_b32_e32 v5, s7
	v_add_co_u32_e32 v3, vcc, s6, v3
	v_addc_co_u32_e32 v4, vcc, v5, v4, vcc
	global_load_dwordx2 v[3:4], v[3:4], off
	s_mov_b64 s[18:19], -1
	s_waitcnt vmcnt(0)
	v_subrev_co_u32_e32 v5, vcc, s16, v3
	v_subbrev_co_u32_e32 v6, vcc, 0, v4, vcc
	v_cmp_lt_i64_e32 vcc, -1, v[5:6]
	s_and_b64 exec, exec, vcc
	s_cbranch_execz .LBB34_35
; %bb.11:
	s_load_dwordx4 s[0:3], s[4:5], 0x0
	s_load_dwordx2 s[6:7], s[4:5], 0x40
                                        ; implicit-def: $vgpr3_vgpr4
	s_waitcnt lgkmcnt(0)
	s_cmp_eq_u32 s2, 1
	s_cselect_b64 s[10:11], -1, 0
	s_cmpk_eq_i32 s0, 0x6f
	s_cselect_b64 s[14:15], -1, 0
	s_cmpk_lg_i32 s0, 0x6f
	s_cselect_b64 s[16:17], -1, 0
	s_cmp_lg_u32 s2, 1
	s_cbranch_scc0 .LBB34_15
; %bb.12:
	v_mov_b32_e32 v3, v7
	s_andn2_b64 vcc, exec, s[14:15]
	v_mov_b32_e32 v4, v8
	s_cbranch_vccnz .LBB34_14
; %bb.13:
	v_mul_lo_u32 v9, v8, s6
	v_mul_lo_u32 v10, v7, s7
	v_mad_u64_u32 v[3:4], s[18:19], v7, s6, 0
	v_add3_u32 v4, v4, v10, v9
.LBB34_14:
	s_mov_b64 s[18:19], 0
.LBB34_15:
	s_andn2_b64 vcc, exec, s[18:19]
	s_cbranch_vccnz .LBB34_19
; %bb.16:
	s_andn2_b64 vcc, exec, s[16:17]
	s_cbranch_vccnz .LBB34_18
; %bb.17:
	v_mul_lo_u32 v3, v8, s6
	v_mul_lo_u32 v4, v7, s7
	v_mad_u64_u32 v[7:8], s[16:17], v7, s6, 0
	v_add3_u32 v8, v8, v4, v3
.LBB34_18:
	v_mov_b32_e32 v3, v7
	v_mov_b32_e32 v4, v8
.LBB34_19:
	s_cmp_eq_u32 s3, 1
	s_cselect_b64 s[18:19], -1, 0
	s_cmpk_eq_i32 s1, 0x6f
	s_cselect_b64 s[20:21], -1, 0
	s_cmpk_lg_i32 s1, 0x6f
	s_cselect_b64 s[0:1], -1, 0
	s_cmp_lg_u32 s3, 1
	s_cbranch_scc0 .LBB34_23
; %bb.20:
	v_mov_b32_e32 v8, v6
	s_andn2_b64 vcc, exec, s[0:1]
	v_mov_b32_e32 v7, v5
	s_cbranch_vccnz .LBB34_22
; %bb.21:
	v_mul_lo_u32 v9, v6, s12
	v_mul_lo_u32 v10, v5, s13
	v_mad_u64_u32 v[7:8], s[0:1], v5, s12, 0
	v_add3_u32 v8, v8, v10, v9
.LBB34_22:
	s_cbranch_execz .LBB34_24
	s_branch .LBB34_27
.LBB34_23:
                                        ; implicit-def: $vgpr7_vgpr8
.LBB34_24:
	s_andn2_b64 vcc, exec, s[20:21]
	s_cbranch_vccnz .LBB34_26
; %bb.25:
	v_mul_lo_u32 v7, v6, s12
	v_mul_lo_u32 v8, v5, s13
	v_mad_u64_u32 v[5:6], s[0:1], v5, s12, 0
	v_add3_u32 v6, v6, v8, v7
.LBB34_26:
	v_mov_b32_e32 v8, v6
	v_mov_b32_e32 v7, v5
.LBB34_27:
	s_load_dwordx2 s[2:3], s[4:5], 0x60
	v_and_b32_e32 v5, 1, v0
	v_mov_b32_e32 v6, 0
	v_cmp_gt_i64_e32 vcc, s[8:9], v[5:6]
	s_and_saveexec_b64 s[16:17], vcc
	s_cbranch_execz .LBB34_31
; %bb.28:
	s_xor_b64 s[0:1], s[14:15], s[10:11]
	s_and_b64 s[0:1], s[0:1], exec
	s_cselect_b32 s1, 0, s7
	s_cselect_b32 s0, 1, s6
	s_xor_b64 s[6:7], s[20:21], s[18:19]
	s_and_b64 s[6:7], s[6:7], exec
	s_cselect_b32 s7, s13, 0
	s_cselect_b32 s6, s12, 1
	v_mul_lo_u32 v10, s7, v5
	v_mul_lo_u32 v9, s6, v5
	v_lshlrev_b64 v[7:8], 1, v[7:8]
	s_load_dwordx2 s[10:11], s[4:5], 0x38
	s_load_dwordx2 s[12:13], s[4:5], 0x48
	v_lshlrev_b64 v[3:4], 1, v[3:4]
	v_lshlrev_b64 v[9:10], 1, v[9:10]
	s_lshl_b64 s[4:5], s[6:7], 2
	v_add_co_u32_e32 v0, vcc, v9, v7
	v_addc_co_u32_e32 v8, vcc, v10, v8, vcc
	v_mul_lo_u32 v10, s1, v5
	v_mul_lo_u32 v9, s0, v5
	s_waitcnt lgkmcnt(0)
	v_mov_b32_e32 v14, s13
	v_add_co_u32_e32 v7, vcc, s12, v0
	v_lshlrev_b64 v[9:10], 1, v[9:10]
	v_addc_co_u32_e32 v8, vcc, v14, v8, vcc
	v_add_co_u32_e32 v0, vcc, v9, v3
	v_addc_co_u32_e32 v4, vcc, v10, v4, vcc
	v_mov_b32_e32 v9, s11
	v_add_co_u32_e32 v3, vcc, s10, v0
	v_addc_co_u32_e32 v4, vcc, v9, v4, vcc
	v_mov_b32_e32 v0, 0
	v_mov_b32_e32 v10, v6
	s_lshl_b64 s[6:7], s[0:1], 2
	s_mov_b64 s[10:11], 0
	v_mov_b32_e32 v9, v5
	v_mov_b32_e32 v6, v0
.LBB34_29:                              ; =>This Inner Loop Header: Depth=1
	global_load_ushort v0, v[3:4], off
	global_load_ushort v14, v[7:8], off
	v_add_co_u32_e32 v9, vcc, 2, v9
	v_mov_b32_e32 v15, s5
	v_add_co_u32_e64 v7, s[0:1], s4, v7
	v_addc_co_u32_e32 v10, vcc, 0, v10, vcc
	v_addc_co_u32_e64 v8, s[0:1], v8, v15, s[0:1]
	v_cmp_le_i64_e64 s[0:1], s[8:9], v[9:10]
	v_mov_b32_e32 v16, s7
	v_add_co_u32_e32 v3, vcc, s6, v3
	v_addc_co_u32_e32 v4, vcc, v4, v16, vcc
	s_or_b64 s[10:11], s[0:1], s[10:11]
	s_waitcnt vmcnt(0)
	v_fma_f16 v6, v0, v14, v6
	s_andn2_b64 exec, exec, s[10:11]
	s_cbranch_execnz .LBB34_29
; %bb.30:
	s_or_b64 exec, exec, s[10:11]
.LBB34_31:
	s_or_b64 exec, exec, s[16:17]
	v_lshlrev_b32_e32 v0, 2, v13
	v_lshl_or_b32 v3, v5, 1, v0
	v_cmp_eq_u32_e32 vcc, 0, v5
	ds_write_b16 v3, v6
	s_waitcnt lgkmcnt(0)
	s_barrier
	s_and_saveexec_b64 s[0:1], vcc
	s_cbranch_execz .LBB34_33
; %bb.32:
	ds_read_u16 v4, v0 offset:2
	ds_read_u16 v5, v3
	s_waitcnt lgkmcnt(0)
	v_add_f16_e32 v4, v4, v5
	ds_write_b16 v3, v4
.LBB34_33:
	s_or_b64 exec, exec, s[0:1]
	s_waitcnt lgkmcnt(0)
	s_barrier
	s_and_b64 exec, exec, vcc
	s_cbranch_execz .LBB34_35
; %bb.34:
	v_lshlrev_b64 v[1:2], 1, v[1:2]
	v_mov_b32_e32 v3, s3
	v_add_co_u32_e32 v1, vcc, s2, v1
	v_addc_co_u32_e32 v2, vcc, v3, v2, vcc
	global_load_ushort v3, v[1:2], off
	ds_read_u16 v0, v0
	s_waitcnt lgkmcnt(0)
	v_mul_f16_e32 v0, v11, v0
	s_waitcnt vmcnt(0)
	v_fma_f16 v0, v12, v3, v0
	global_store_short v[1:2], v0, off
.LBB34_35:
	s_endpgm
	.section	.rodata,"a",@progbits
	.p2align	6, 0x0
	.amdhsa_kernel _ZN9rocsparseL16sddmm_ell_kernelILi512ELi2EDF16_llDF16_DF16_DF16_EEv20rocsparse_operation_S1_16rocsparse_order_S2_T3_S3_S3_T2_NS_24const_host_device_scalarIT1_EEPKT4_lPKT5_lS7_PT6_PKS3_21rocsparse_index_base_b
		.amdhsa_group_segment_fixed_size 1024
		.amdhsa_private_segment_fixed_size 0
		.amdhsa_kernarg_size 120
		.amdhsa_user_sgpr_count 6
		.amdhsa_user_sgpr_private_segment_buffer 1
		.amdhsa_user_sgpr_dispatch_ptr 0
		.amdhsa_user_sgpr_queue_ptr 0
		.amdhsa_user_sgpr_kernarg_segment_ptr 1
		.amdhsa_user_sgpr_dispatch_id 0
		.amdhsa_user_sgpr_flat_scratch_init 0
		.amdhsa_user_sgpr_private_segment_size 0
		.amdhsa_uses_dynamic_stack 0
		.amdhsa_system_sgpr_private_segment_wavefront_offset 0
		.amdhsa_system_sgpr_workgroup_id_x 1
		.amdhsa_system_sgpr_workgroup_id_y 0
		.amdhsa_system_sgpr_workgroup_id_z 0
		.amdhsa_system_sgpr_workgroup_info 0
		.amdhsa_system_vgpr_workitem_id 0
		.amdhsa_next_free_vgpr 17
		.amdhsa_next_free_sgpr 24
		.amdhsa_reserve_vcc 1
		.amdhsa_reserve_flat_scratch 0
		.amdhsa_float_round_mode_32 0
		.amdhsa_float_round_mode_16_64 0
		.amdhsa_float_denorm_mode_32 3
		.amdhsa_float_denorm_mode_16_64 3
		.amdhsa_dx10_clamp 1
		.amdhsa_ieee_mode 1
		.amdhsa_fp16_overflow 0
		.amdhsa_exception_fp_ieee_invalid_op 0
		.amdhsa_exception_fp_denorm_src 0
		.amdhsa_exception_fp_ieee_div_zero 0
		.amdhsa_exception_fp_ieee_overflow 0
		.amdhsa_exception_fp_ieee_underflow 0
		.amdhsa_exception_fp_ieee_inexact 0
		.amdhsa_exception_int_div_zero 0
	.end_amdhsa_kernel
	.section	.text._ZN9rocsparseL16sddmm_ell_kernelILi512ELi2EDF16_llDF16_DF16_DF16_EEv20rocsparse_operation_S1_16rocsparse_order_S2_T3_S3_S3_T2_NS_24const_host_device_scalarIT1_EEPKT4_lPKT5_lS7_PT6_PKS3_21rocsparse_index_base_b,"axG",@progbits,_ZN9rocsparseL16sddmm_ell_kernelILi512ELi2EDF16_llDF16_DF16_DF16_EEv20rocsparse_operation_S1_16rocsparse_order_S2_T3_S3_S3_T2_NS_24const_host_device_scalarIT1_EEPKT4_lPKT5_lS7_PT6_PKS3_21rocsparse_index_base_b,comdat
.Lfunc_end34:
	.size	_ZN9rocsparseL16sddmm_ell_kernelILi512ELi2EDF16_llDF16_DF16_DF16_EEv20rocsparse_operation_S1_16rocsparse_order_S2_T3_S3_S3_T2_NS_24const_host_device_scalarIT1_EEPKT4_lPKT5_lS7_PT6_PKS3_21rocsparse_index_base_b, .Lfunc_end34-_ZN9rocsparseL16sddmm_ell_kernelILi512ELi2EDF16_llDF16_DF16_DF16_EEv20rocsparse_operation_S1_16rocsparse_order_S2_T3_S3_S3_T2_NS_24const_host_device_scalarIT1_EEPKT4_lPKT5_lS7_PT6_PKS3_21rocsparse_index_base_b
                                        ; -- End function
	.set _ZN9rocsparseL16sddmm_ell_kernelILi512ELi2EDF16_llDF16_DF16_DF16_EEv20rocsparse_operation_S1_16rocsparse_order_S2_T3_S3_S3_T2_NS_24const_host_device_scalarIT1_EEPKT4_lPKT5_lS7_PT6_PKS3_21rocsparse_index_base_b.num_vgpr, 17
	.set _ZN9rocsparseL16sddmm_ell_kernelILi512ELi2EDF16_llDF16_DF16_DF16_EEv20rocsparse_operation_S1_16rocsparse_order_S2_T3_S3_S3_T2_NS_24const_host_device_scalarIT1_EEPKT4_lPKT5_lS7_PT6_PKS3_21rocsparse_index_base_b.num_agpr, 0
	.set _ZN9rocsparseL16sddmm_ell_kernelILi512ELi2EDF16_llDF16_DF16_DF16_EEv20rocsparse_operation_S1_16rocsparse_order_S2_T3_S3_S3_T2_NS_24const_host_device_scalarIT1_EEPKT4_lPKT5_lS7_PT6_PKS3_21rocsparse_index_base_b.numbered_sgpr, 24
	.set _ZN9rocsparseL16sddmm_ell_kernelILi512ELi2EDF16_llDF16_DF16_DF16_EEv20rocsparse_operation_S1_16rocsparse_order_S2_T3_S3_S3_T2_NS_24const_host_device_scalarIT1_EEPKT4_lPKT5_lS7_PT6_PKS3_21rocsparse_index_base_b.num_named_barrier, 0
	.set _ZN9rocsparseL16sddmm_ell_kernelILi512ELi2EDF16_llDF16_DF16_DF16_EEv20rocsparse_operation_S1_16rocsparse_order_S2_T3_S3_S3_T2_NS_24const_host_device_scalarIT1_EEPKT4_lPKT5_lS7_PT6_PKS3_21rocsparse_index_base_b.private_seg_size, 0
	.set _ZN9rocsparseL16sddmm_ell_kernelILi512ELi2EDF16_llDF16_DF16_DF16_EEv20rocsparse_operation_S1_16rocsparse_order_S2_T3_S3_S3_T2_NS_24const_host_device_scalarIT1_EEPKT4_lPKT5_lS7_PT6_PKS3_21rocsparse_index_base_b.uses_vcc, 1
	.set _ZN9rocsparseL16sddmm_ell_kernelILi512ELi2EDF16_llDF16_DF16_DF16_EEv20rocsparse_operation_S1_16rocsparse_order_S2_T3_S3_S3_T2_NS_24const_host_device_scalarIT1_EEPKT4_lPKT5_lS7_PT6_PKS3_21rocsparse_index_base_b.uses_flat_scratch, 0
	.set _ZN9rocsparseL16sddmm_ell_kernelILi512ELi2EDF16_llDF16_DF16_DF16_EEv20rocsparse_operation_S1_16rocsparse_order_S2_T3_S3_S3_T2_NS_24const_host_device_scalarIT1_EEPKT4_lPKT5_lS7_PT6_PKS3_21rocsparse_index_base_b.has_dyn_sized_stack, 0
	.set _ZN9rocsparseL16sddmm_ell_kernelILi512ELi2EDF16_llDF16_DF16_DF16_EEv20rocsparse_operation_S1_16rocsparse_order_S2_T3_S3_S3_T2_NS_24const_host_device_scalarIT1_EEPKT4_lPKT5_lS7_PT6_PKS3_21rocsparse_index_base_b.has_recursion, 0
	.set _ZN9rocsparseL16sddmm_ell_kernelILi512ELi2EDF16_llDF16_DF16_DF16_EEv20rocsparse_operation_S1_16rocsparse_order_S2_T3_S3_S3_T2_NS_24const_host_device_scalarIT1_EEPKT4_lPKT5_lS7_PT6_PKS3_21rocsparse_index_base_b.has_indirect_call, 0
	.section	.AMDGPU.csdata,"",@progbits
; Kernel info:
; codeLenInByte = 1712
; TotalNumSgprs: 28
; NumVgprs: 17
; ScratchSize: 0
; MemoryBound: 0
; FloatMode: 240
; IeeeMode: 1
; LDSByteSize: 1024 bytes/workgroup (compile time only)
; SGPRBlocks: 3
; VGPRBlocks: 4
; NumSGPRsForWavesPerEU: 28
; NumVGPRsForWavesPerEU: 17
; Occupancy: 10
; WaveLimiterHint : 0
; COMPUTE_PGM_RSRC2:SCRATCH_EN: 0
; COMPUTE_PGM_RSRC2:USER_SGPR: 6
; COMPUTE_PGM_RSRC2:TRAP_HANDLER: 0
; COMPUTE_PGM_RSRC2:TGID_X_EN: 1
; COMPUTE_PGM_RSRC2:TGID_Y_EN: 0
; COMPUTE_PGM_RSRC2:TGID_Z_EN: 0
; COMPUTE_PGM_RSRC2:TIDIG_COMP_CNT: 0
	.section	.text._ZN9rocsparseL16sddmm_ell_kernelILi512ELi1EDF16_llDF16_DF16_DF16_EEv20rocsparse_operation_S1_16rocsparse_order_S2_T3_S3_S3_T2_NS_24const_host_device_scalarIT1_EEPKT4_lPKT5_lS7_PT6_PKS3_21rocsparse_index_base_b,"axG",@progbits,_ZN9rocsparseL16sddmm_ell_kernelILi512ELi1EDF16_llDF16_DF16_DF16_EEv20rocsparse_operation_S1_16rocsparse_order_S2_T3_S3_S3_T2_NS_24const_host_device_scalarIT1_EEPKT4_lPKT5_lS7_PT6_PKS3_21rocsparse_index_base_b,comdat
	.globl	_ZN9rocsparseL16sddmm_ell_kernelILi512ELi1EDF16_llDF16_DF16_DF16_EEv20rocsparse_operation_S1_16rocsparse_order_S2_T3_S3_S3_T2_NS_24const_host_device_scalarIT1_EEPKT4_lPKT5_lS7_PT6_PKS3_21rocsparse_index_base_b ; -- Begin function _ZN9rocsparseL16sddmm_ell_kernelILi512ELi1EDF16_llDF16_DF16_DF16_EEv20rocsparse_operation_S1_16rocsparse_order_S2_T3_S3_S3_T2_NS_24const_host_device_scalarIT1_EEPKT4_lPKT5_lS7_PT6_PKS3_21rocsparse_index_base_b
	.p2align	8
	.type	_ZN9rocsparseL16sddmm_ell_kernelILi512ELi1EDF16_llDF16_DF16_DF16_EEv20rocsparse_operation_S1_16rocsparse_order_S2_T3_S3_S3_T2_NS_24const_host_device_scalarIT1_EEPKT4_lPKT5_lS7_PT6_PKS3_21rocsparse_index_base_b,@function
_ZN9rocsparseL16sddmm_ell_kernelILi512ELi1EDF16_llDF16_DF16_DF16_EEv20rocsparse_operation_S1_16rocsparse_order_S2_T3_S3_S3_T2_NS_24const_host_device_scalarIT1_EEPKT4_lPKT5_lS7_PT6_PKS3_21rocsparse_index_base_b: ; @_ZN9rocsparseL16sddmm_ell_kernelILi512ELi1EDF16_llDF16_DF16_DF16_EEv20rocsparse_operation_S1_16rocsparse_order_S2_T3_S3_S3_T2_NS_24const_host_device_scalarIT1_EEPKT4_lPKT5_lS7_PT6_PKS3_21rocsparse_index_base_b
; %bb.0:
	s_load_dwordx2 s[16:17], s[4:5], 0x70
	s_load_dwordx2 s[2:3], s[4:5], 0x30
	s_load_dwordx4 s[8:11], s[4:5], 0x50
	s_waitcnt lgkmcnt(0)
	s_bitcmp1_b32 s17, 0
	s_cselect_b64 s[12:13], -1, 0
	s_xor_b64 s[0:1], s[12:13], -1
	s_and_b64 vcc, exec, s[12:13]
	v_mov_b32_e32 v9, s2
	s_cbranch_vccnz .LBB35_2
; %bb.1:
	v_mov_b32_e32 v1, 0
	global_load_ushort v9, v1, s[2:3]
.LBB35_2:
	s_andn2_b64 vcc, exec, s[0:1]
	v_mov_b32_e32 v10, s10
	s_cbranch_vccnz .LBB35_4
; %bb.3:
	v_mov_b32_e32 v1, 0
	global_load_ushort v10, v1, s[10:11]
.LBB35_4:
	s_waitcnt vmcnt(0)
	v_cmp_eq_f16_e32 vcc, 0, v9
	v_cmp_eq_f16_e64 s[0:1], 1.0, v10
	s_and_b64 s[0:1], vcc, s[0:1]
	s_and_b64 vcc, exec, s[0:1]
	s_cbranch_vccnz .LBB35_32
; %bb.5:
	s_load_dwordx4 s[12:15], s[4:5], 0x20
	v_lshl_or_b32 v1, s6, 9, v0
	v_mov_b32_e32 v2, 0
	s_waitcnt lgkmcnt(0)
	v_cmp_gt_i64_e32 vcc, s[14:15], v[1:2]
	s_and_saveexec_b64 s[0:1], vcc
	s_cbranch_execz .LBB35_32
; %bb.6:
	s_load_dwordx2 s[10:11], s[4:5], 0x10
	s_load_dwordx2 s[6:7], s[4:5], 0x68
	s_mov_b32 s0, 0
                                        ; implicit-def: $vgpr7_vgpr8
	s_waitcnt lgkmcnt(0)
	s_mov_b32 s1, s11
	s_cmp_lg_u64 s[0:1], 0
	s_cselect_b64 s[0:1], -1, 0
	s_and_saveexec_b64 s[2:3], s[0:1]
	s_xor_b64 s[14:15], exec, s[2:3]
	s_cbranch_execz .LBB35_8
; %bb.7:
	s_ashr_i32 s0, s11, 31
	s_add_u32 s2, s10, s0
	s_mov_b32 s1, s0
	s_addc_u32 s3, s11, s0
	s_xor_b64 s[18:19], s[2:3], s[0:1]
	v_cvt_f32_u32_e32 v3, s18
	v_cvt_f32_u32_e32 v4, s19
	s_sub_u32 s2, 0, s18
	s_subb_u32 s3, 0, s19
	v_add_co_u32_e32 v7, vcc, 0, v1
	v_madmk_f32 v3, v4, 0x4f800000, v3
	v_rcp_f32_e32 v3, v3
	v_mul_f32_e32 v3, 0x5f7ffffc, v3
	v_mul_f32_e32 v4, 0x2f800000, v3
	v_trunc_f32_e32 v4, v4
	v_madmk_f32 v3, v4, 0xcf800000, v3
	v_cvt_u32_f32_e32 v4, v4
	v_cvt_u32_f32_e32 v3, v3
	v_readfirstlane_b32 s11, v4
	v_readfirstlane_b32 s0, v3
	s_mul_i32 s1, s2, s11
	s_mul_hi_u32 s20, s2, s0
	s_mul_i32 s17, s3, s0
	s_add_i32 s1, s20, s1
	s_add_i32 s1, s1, s17
	s_mul_i32 s21, s2, s0
	s_mul_i32 s20, s0, s1
	s_mul_hi_u32 s22, s0, s21
	s_mul_hi_u32 s17, s0, s1
	s_add_u32 s20, s22, s20
	s_addc_u32 s17, 0, s17
	s_mul_hi_u32 s23, s11, s21
	s_mul_i32 s21, s11, s21
	s_add_u32 s20, s20, s21
	s_mul_hi_u32 s22, s11, s1
	s_addc_u32 s17, s17, s23
	s_addc_u32 s20, s22, 0
	s_mul_i32 s1, s11, s1
	s_add_u32 s1, s17, s1
	s_addc_u32 s17, 0, s20
	s_add_u32 s20, s0, s1
	s_cselect_b64 s[0:1], -1, 0
	s_cmp_lg_u64 s[0:1], 0
	s_addc_u32 s11, s11, s17
	s_mul_i32 s0, s2, s11
	s_mul_hi_u32 s1, s2, s20
	s_add_i32 s0, s1, s0
	s_mul_i32 s3, s3, s20
	s_add_i32 s0, s0, s3
	s_mul_i32 s2, s2, s20
	s_mul_hi_u32 s3, s11, s2
	s_mul_i32 s17, s11, s2
	s_mul_i32 s22, s20, s0
	s_mul_hi_u32 s2, s20, s2
	s_mul_hi_u32 s21, s20, s0
	s_add_u32 s2, s2, s22
	s_addc_u32 s21, 0, s21
	s_add_u32 s2, s2, s17
	s_mul_hi_u32 s1, s11, s0
	s_addc_u32 s2, s21, s3
	s_addc_u32 s1, s1, 0
	s_mul_i32 s0, s11, s0
	s_add_u32 s0, s2, s0
	s_addc_u32 s2, 0, s1
	s_add_u32 s3, s20, s0
	s_cselect_b64 s[0:1], -1, 0
	s_cmp_lg_u64 s[0:1], 0
	s_addc_u32 s2, s11, s2
	v_mad_u64_u32 v[3:4], s[0:1], v7, s2, 0
	v_mul_hi_u32 v5, v7, s3
	v_addc_co_u32_e64 v8, s[0:1], 0, 0, vcc
	v_add_co_u32_e32 v11, vcc, v5, v3
	v_addc_co_u32_e32 v12, vcc, 0, v4, vcc
	v_mad_u64_u32 v[3:4], s[0:1], v8, s3, 0
	v_mad_u64_u32 v[5:6], s[0:1], v8, s2, 0
	v_add_co_u32_e32 v3, vcc, v11, v3
	v_addc_co_u32_e32 v3, vcc, v12, v4, vcc
	v_addc_co_u32_e32 v4, vcc, 0, v6, vcc
	v_add_co_u32_e32 v3, vcc, v3, v5
	v_addc_co_u32_e32 v4, vcc, 0, v4, vcc
	v_mul_lo_u32 v5, s19, v3
	v_mul_lo_u32 v6, s18, v4
	v_mad_u64_u32 v[3:4], s[0:1], s18, v3, 0
	v_add3_u32 v4, v4, v6, v5
	v_sub_u32_e32 v5, v8, v4
	v_mov_b32_e32 v6, s19
	v_sub_co_u32_e32 v3, vcc, v7, v3
	v_subb_co_u32_e64 v5, s[0:1], v5, v6, vcc
	v_subrev_co_u32_e64 v7, s[0:1], s18, v3
	v_subbrev_co_u32_e64 v11, s[2:3], 0, v5, s[0:1]
	v_cmp_le_u32_e64 s[2:3], s19, v11
	v_cndmask_b32_e64 v12, 0, -1, s[2:3]
	v_cmp_le_u32_e64 s[2:3], s18, v7
	v_subb_co_u32_e64 v5, s[0:1], v5, v6, s[0:1]
	v_cndmask_b32_e64 v13, 0, -1, s[2:3]
	v_cmp_eq_u32_e64 s[2:3], s19, v11
	v_subrev_co_u32_e64 v6, s[0:1], s18, v7
	v_subb_co_u32_e32 v4, vcc, v8, v4, vcc
	v_cndmask_b32_e64 v12, v12, v13, s[2:3]
	v_subbrev_co_u32_e64 v5, s[0:1], 0, v5, s[0:1]
	v_cmp_le_u32_e32 vcc, s19, v4
	v_cmp_ne_u32_e64 s[0:1], 0, v12
	v_cndmask_b32_e64 v8, 0, -1, vcc
	v_cmp_le_u32_e32 vcc, s18, v3
	v_cndmask_b32_e64 v5, v11, v5, s[0:1]
	v_cndmask_b32_e64 v11, 0, -1, vcc
	v_cmp_eq_u32_e32 vcc, s19, v4
	v_cndmask_b32_e32 v8, v8, v11, vcc
	v_cmp_ne_u32_e32 vcc, 0, v8
	v_cndmask_b32_e32 v4, v4, v5, vcc
	v_cndmask_b32_e64 v5, v7, v6, s[0:1]
	v_cndmask_b32_e32 v3, v3, v5, vcc
	v_subrev_co_u32_e32 v7, vcc, 0, v3
	v_subbrev_co_u32_e32 v8, vcc, 0, v4, vcc
.LBB35_8:
	s_andn2_saveexec_b64 s[0:1], s[14:15]
	s_cbranch_execz .LBB35_10
; %bb.9:
	v_cvt_f32_u32_e32 v3, s10
	s_sub_i32 s2, 0, s10
	v_mov_b32_e32 v8, 0
	v_rcp_iflag_f32_e32 v3, v3
	v_mul_f32_e32 v3, 0x4f7ffffe, v3
	v_cvt_u32_f32_e32 v3, v3
	v_mul_lo_u32 v4, s2, v3
	v_mul_hi_u32 v4, v3, v4
	v_add_u32_e32 v3, v3, v4
	v_mul_hi_u32 v3, v1, v3
	v_mul_lo_u32 v3, v3, s10
	v_sub_u32_e32 v3, v1, v3
	v_subrev_u32_e32 v4, s10, v3
	v_cmp_le_u32_e32 vcc, s10, v3
	v_cndmask_b32_e32 v3, v3, v4, vcc
	v_subrev_u32_e32 v4, s10, v3
	v_cmp_le_u32_e32 vcc, s10, v3
	v_cndmask_b32_e32 v7, v3, v4, vcc
.LBB35_10:
	s_or_b64 exec, exec, s[0:1]
	v_lshlrev_b64 v[3:4], 3, v[1:2]
	v_mov_b32_e32 v5, s7
	v_add_co_u32_e32 v3, vcc, s6, v3
	v_addc_co_u32_e32 v4, vcc, v5, v4, vcc
	global_load_dwordx2 v[3:4], v[3:4], off
	s_mov_b64 s[18:19], -1
	s_waitcnt vmcnt(0)
	v_subrev_co_u32_e32 v3, vcc, s16, v3
	v_subbrev_co_u32_e32 v4, vcc, 0, v4, vcc
	v_cmp_lt_i64_e32 vcc, -1, v[3:4]
	s_and_b64 exec, exec, vcc
	s_cbranch_execz .LBB35_32
; %bb.11:
	s_load_dwordx4 s[0:3], s[4:5], 0x0
	s_load_dwordx2 s[6:7], s[4:5], 0x40
                                        ; implicit-def: $vgpr5_vgpr6
	s_waitcnt lgkmcnt(0)
	s_cmp_eq_u32 s2, 1
	s_cselect_b64 s[10:11], -1, 0
	s_cmpk_eq_i32 s0, 0x6f
	s_cselect_b64 s[14:15], -1, 0
	s_cmpk_lg_i32 s0, 0x6f
	s_cselect_b64 s[16:17], -1, 0
	s_cmp_lg_u32 s2, 1
	s_cbranch_scc0 .LBB35_15
; %bb.12:
	v_mov_b32_e32 v5, v7
	s_andn2_b64 vcc, exec, s[14:15]
	v_mov_b32_e32 v6, v8
	s_cbranch_vccnz .LBB35_14
; %bb.13:
	v_mul_lo_u32 v11, v8, s6
	v_mul_lo_u32 v12, v7, s7
	v_mad_u64_u32 v[5:6], s[18:19], v7, s6, 0
	v_add3_u32 v6, v6, v12, v11
.LBB35_14:
	s_mov_b64 s[18:19], 0
.LBB35_15:
	s_andn2_b64 vcc, exec, s[18:19]
	s_cbranch_vccnz .LBB35_19
; %bb.16:
	s_andn2_b64 vcc, exec, s[16:17]
	s_cbranch_vccnz .LBB35_18
; %bb.17:
	v_mul_lo_u32 v5, v8, s6
	v_mul_lo_u32 v6, v7, s7
	v_mad_u64_u32 v[7:8], s[16:17], v7, s6, 0
	v_add3_u32 v8, v8, v6, v5
.LBB35_18:
	v_mov_b32_e32 v5, v7
	v_mov_b32_e32 v6, v8
.LBB35_19:
	s_cmp_eq_u32 s3, 1
	s_cselect_b64 s[16:17], -1, 0
	s_cmpk_eq_i32 s1, 0x6f
	s_cselect_b64 s[18:19], -1, 0
	s_cmpk_lg_i32 s1, 0x6f
	s_cselect_b64 s[0:1], -1, 0
	s_cmp_lg_u32 s3, 1
	s_cbranch_scc0 .LBB35_23
; %bb.20:
	v_mov_b32_e32 v8, v4
	s_andn2_b64 vcc, exec, s[0:1]
	v_mov_b32_e32 v7, v3
	s_cbranch_vccnz .LBB35_22
; %bb.21:
	v_mul_lo_u32 v11, v4, s8
	v_mul_lo_u32 v12, v3, s9
	v_mad_u64_u32 v[7:8], s[0:1], v3, s8, 0
	v_add3_u32 v8, v8, v12, v11
.LBB35_22:
	s_cbranch_execz .LBB35_24
	s_branch .LBB35_27
.LBB35_23:
                                        ; implicit-def: $vgpr7_vgpr8
.LBB35_24:
	s_andn2_b64 vcc, exec, s[18:19]
	s_cbranch_vccnz .LBB35_26
; %bb.25:
	v_mul_lo_u32 v7, v4, s8
	v_mul_lo_u32 v8, v3, s9
	v_mad_u64_u32 v[3:4], s[0:1], v3, s8, 0
	v_add3_u32 v4, v4, v8, v7
.LBB35_26:
	v_mov_b32_e32 v8, v4
	v_mov_b32_e32 v7, v3
.LBB35_27:
	s_load_dwordx2 s[0:1], s[4:5], 0x60
	v_cmp_lt_i64_e64 s[2:3], s[12:13], 1
	s_and_b64 vcc, exec, s[2:3]
	s_cbranch_vccnz .LBB35_30
; %bb.28:
	s_load_dwordx2 s[2:3], s[4:5], 0x48
	s_load_dwordx2 s[20:21], s[4:5], 0x38
	v_lshlrev_b64 v[3:4], 1, v[7:8]
	v_lshlrev_b64 v[5:6], 1, v[5:6]
	s_waitcnt lgkmcnt(0)
	v_mov_b32_e32 v7, s3
	v_add_co_u32_e32 v3, vcc, s2, v3
	s_xor_b64 s[2:3], s[14:15], s[10:11]
	s_and_b64 s[2:3], s[2:3], exec
	s_cselect_b32 s5, 0, s7
	s_cselect_b32 s4, 1, s6
	s_xor_b64 s[2:3], s[18:19], s[16:17]
	s_and_b64 s[2:3], s[2:3], exec
	v_addc_co_u32_e32 v4, vcc, v7, v4, vcc
	s_cselect_b32 s3, s9, 0
	s_cselect_b32 s2, s8, 1
	v_mov_b32_e32 v7, s21
	v_add_co_u32_e32 v5, vcc, s20, v5
	s_lshl_b64 s[2:3], s[2:3], 1
	s_lshl_b64 s[4:5], s[4:5], 1
	v_addc_co_u32_e32 v6, vcc, v7, v6, vcc
	v_mov_b32_e32 v7, 0
	v_mov_b32_e32 v8, s3
	;; [unrolled: 1-line block ×3, first 2 shown]
.LBB35_29:                              ; =>This Inner Loop Header: Depth=1
	global_load_ushort v12, v[5:6], off
	global_load_ushort v13, v[3:4], off
	v_add_co_u32_e32 v3, vcc, s2, v3
	s_add_u32 s12, s12, -1
	v_addc_co_u32_e32 v4, vcc, v4, v8, vcc
	v_add_co_u32_e32 v5, vcc, s4, v5
	s_addc_u32 s13, s13, -1
	v_addc_co_u32_e32 v6, vcc, v6, v11, vcc
	s_cmp_eq_u64 s[12:13], 0
	s_waitcnt vmcnt(0)
	v_fma_f16 v7, v12, v13, v7
	s_cbranch_scc0 .LBB35_29
	s_branch .LBB35_31
.LBB35_30:
	v_mov_b32_e32 v7, 0
.LBB35_31:
	v_lshlrev_b32_e32 v3, 1, v0
	v_lshlrev_b64 v[0:1], 1, v[1:2]
	s_waitcnt lgkmcnt(0)
	v_mov_b32_e32 v2, s1
	v_add_co_u32_e32 v0, vcc, s0, v0
	v_addc_co_u32_e32 v1, vcc, v2, v1, vcc
	ds_write_b16 v3, v7
	s_waitcnt lgkmcnt(0)
	s_barrier
	global_load_ushort v2, v[0:1], off
	ds_read_u16 v3, v3
	s_waitcnt lgkmcnt(0)
	v_mul_f16_e32 v3, v9, v3
	s_waitcnt vmcnt(0)
	v_fma_f16 v2, v10, v2, v3
	global_store_short v[0:1], v2, off
.LBB35_32:
	s_endpgm
	.section	.rodata,"a",@progbits
	.p2align	6, 0x0
	.amdhsa_kernel _ZN9rocsparseL16sddmm_ell_kernelILi512ELi1EDF16_llDF16_DF16_DF16_EEv20rocsparse_operation_S1_16rocsparse_order_S2_T3_S3_S3_T2_NS_24const_host_device_scalarIT1_EEPKT4_lPKT5_lS7_PT6_PKS3_21rocsparse_index_base_b
		.amdhsa_group_segment_fixed_size 1024
		.amdhsa_private_segment_fixed_size 0
		.amdhsa_kernarg_size 120
		.amdhsa_user_sgpr_count 6
		.amdhsa_user_sgpr_private_segment_buffer 1
		.amdhsa_user_sgpr_dispatch_ptr 0
		.amdhsa_user_sgpr_queue_ptr 0
		.amdhsa_user_sgpr_kernarg_segment_ptr 1
		.amdhsa_user_sgpr_dispatch_id 0
		.amdhsa_user_sgpr_flat_scratch_init 0
		.amdhsa_user_sgpr_private_segment_size 0
		.amdhsa_uses_dynamic_stack 0
		.amdhsa_system_sgpr_private_segment_wavefront_offset 0
		.amdhsa_system_sgpr_workgroup_id_x 1
		.amdhsa_system_sgpr_workgroup_id_y 0
		.amdhsa_system_sgpr_workgroup_id_z 0
		.amdhsa_system_sgpr_workgroup_info 0
		.amdhsa_system_vgpr_workitem_id 0
		.amdhsa_next_free_vgpr 14
		.amdhsa_next_free_sgpr 24
		.amdhsa_reserve_vcc 1
		.amdhsa_reserve_flat_scratch 0
		.amdhsa_float_round_mode_32 0
		.amdhsa_float_round_mode_16_64 0
		.amdhsa_float_denorm_mode_32 3
		.amdhsa_float_denorm_mode_16_64 3
		.amdhsa_dx10_clamp 1
		.amdhsa_ieee_mode 1
		.amdhsa_fp16_overflow 0
		.amdhsa_exception_fp_ieee_invalid_op 0
		.amdhsa_exception_fp_denorm_src 0
		.amdhsa_exception_fp_ieee_div_zero 0
		.amdhsa_exception_fp_ieee_overflow 0
		.amdhsa_exception_fp_ieee_underflow 0
		.amdhsa_exception_fp_ieee_inexact 0
		.amdhsa_exception_int_div_zero 0
	.end_amdhsa_kernel
	.section	.text._ZN9rocsparseL16sddmm_ell_kernelILi512ELi1EDF16_llDF16_DF16_DF16_EEv20rocsparse_operation_S1_16rocsparse_order_S2_T3_S3_S3_T2_NS_24const_host_device_scalarIT1_EEPKT4_lPKT5_lS7_PT6_PKS3_21rocsparse_index_base_b,"axG",@progbits,_ZN9rocsparseL16sddmm_ell_kernelILi512ELi1EDF16_llDF16_DF16_DF16_EEv20rocsparse_operation_S1_16rocsparse_order_S2_T3_S3_S3_T2_NS_24const_host_device_scalarIT1_EEPKT4_lPKT5_lS7_PT6_PKS3_21rocsparse_index_base_b,comdat
.Lfunc_end35:
	.size	_ZN9rocsparseL16sddmm_ell_kernelILi512ELi1EDF16_llDF16_DF16_DF16_EEv20rocsparse_operation_S1_16rocsparse_order_S2_T3_S3_S3_T2_NS_24const_host_device_scalarIT1_EEPKT4_lPKT5_lS7_PT6_PKS3_21rocsparse_index_base_b, .Lfunc_end35-_ZN9rocsparseL16sddmm_ell_kernelILi512ELi1EDF16_llDF16_DF16_DF16_EEv20rocsparse_operation_S1_16rocsparse_order_S2_T3_S3_S3_T2_NS_24const_host_device_scalarIT1_EEPKT4_lPKT5_lS7_PT6_PKS3_21rocsparse_index_base_b
                                        ; -- End function
	.set _ZN9rocsparseL16sddmm_ell_kernelILi512ELi1EDF16_llDF16_DF16_DF16_EEv20rocsparse_operation_S1_16rocsparse_order_S2_T3_S3_S3_T2_NS_24const_host_device_scalarIT1_EEPKT4_lPKT5_lS7_PT6_PKS3_21rocsparse_index_base_b.num_vgpr, 14
	.set _ZN9rocsparseL16sddmm_ell_kernelILi512ELi1EDF16_llDF16_DF16_DF16_EEv20rocsparse_operation_S1_16rocsparse_order_S2_T3_S3_S3_T2_NS_24const_host_device_scalarIT1_EEPKT4_lPKT5_lS7_PT6_PKS3_21rocsparse_index_base_b.num_agpr, 0
	.set _ZN9rocsparseL16sddmm_ell_kernelILi512ELi1EDF16_llDF16_DF16_DF16_EEv20rocsparse_operation_S1_16rocsparse_order_S2_T3_S3_S3_T2_NS_24const_host_device_scalarIT1_EEPKT4_lPKT5_lS7_PT6_PKS3_21rocsparse_index_base_b.numbered_sgpr, 24
	.set _ZN9rocsparseL16sddmm_ell_kernelILi512ELi1EDF16_llDF16_DF16_DF16_EEv20rocsparse_operation_S1_16rocsparse_order_S2_T3_S3_S3_T2_NS_24const_host_device_scalarIT1_EEPKT4_lPKT5_lS7_PT6_PKS3_21rocsparse_index_base_b.num_named_barrier, 0
	.set _ZN9rocsparseL16sddmm_ell_kernelILi512ELi1EDF16_llDF16_DF16_DF16_EEv20rocsparse_operation_S1_16rocsparse_order_S2_T3_S3_S3_T2_NS_24const_host_device_scalarIT1_EEPKT4_lPKT5_lS7_PT6_PKS3_21rocsparse_index_base_b.private_seg_size, 0
	.set _ZN9rocsparseL16sddmm_ell_kernelILi512ELi1EDF16_llDF16_DF16_DF16_EEv20rocsparse_operation_S1_16rocsparse_order_S2_T3_S3_S3_T2_NS_24const_host_device_scalarIT1_EEPKT4_lPKT5_lS7_PT6_PKS3_21rocsparse_index_base_b.uses_vcc, 1
	.set _ZN9rocsparseL16sddmm_ell_kernelILi512ELi1EDF16_llDF16_DF16_DF16_EEv20rocsparse_operation_S1_16rocsparse_order_S2_T3_S3_S3_T2_NS_24const_host_device_scalarIT1_EEPKT4_lPKT5_lS7_PT6_PKS3_21rocsparse_index_base_b.uses_flat_scratch, 0
	.set _ZN9rocsparseL16sddmm_ell_kernelILi512ELi1EDF16_llDF16_DF16_DF16_EEv20rocsparse_operation_S1_16rocsparse_order_S2_T3_S3_S3_T2_NS_24const_host_device_scalarIT1_EEPKT4_lPKT5_lS7_PT6_PKS3_21rocsparse_index_base_b.has_dyn_sized_stack, 0
	.set _ZN9rocsparseL16sddmm_ell_kernelILi512ELi1EDF16_llDF16_DF16_DF16_EEv20rocsparse_operation_S1_16rocsparse_order_S2_T3_S3_S3_T2_NS_24const_host_device_scalarIT1_EEPKT4_lPKT5_lS7_PT6_PKS3_21rocsparse_index_base_b.has_recursion, 0
	.set _ZN9rocsparseL16sddmm_ell_kernelILi512ELi1EDF16_llDF16_DF16_DF16_EEv20rocsparse_operation_S1_16rocsparse_order_S2_T3_S3_S3_T2_NS_24const_host_device_scalarIT1_EEPKT4_lPKT5_lS7_PT6_PKS3_21rocsparse_index_base_b.has_indirect_call, 0
	.section	.AMDGPU.csdata,"",@progbits
; Kernel info:
; codeLenInByte = 1536
; TotalNumSgprs: 28
; NumVgprs: 14
; ScratchSize: 0
; MemoryBound: 0
; FloatMode: 240
; IeeeMode: 1
; LDSByteSize: 1024 bytes/workgroup (compile time only)
; SGPRBlocks: 3
; VGPRBlocks: 3
; NumSGPRsForWavesPerEU: 28
; NumVGPRsForWavesPerEU: 14
; Occupancy: 10
; WaveLimiterHint : 0
; COMPUTE_PGM_RSRC2:SCRATCH_EN: 0
; COMPUTE_PGM_RSRC2:USER_SGPR: 6
; COMPUTE_PGM_RSRC2:TRAP_HANDLER: 0
; COMPUTE_PGM_RSRC2:TGID_X_EN: 1
; COMPUTE_PGM_RSRC2:TGID_Y_EN: 0
; COMPUTE_PGM_RSRC2:TGID_Z_EN: 0
; COMPUTE_PGM_RSRC2:TIDIG_COMP_CNT: 0
	.section	.text._ZN9rocsparseL23sddmm_ell_sample_kernelILi16ELi32EflfEEvT2_S1_PKT3_lS1_PS2_PKS1_21rocsparse_index_base_,"axG",@progbits,_ZN9rocsparseL23sddmm_ell_sample_kernelILi16ELi32EflfEEvT2_S1_PKT3_lS1_PS2_PKS1_21rocsparse_index_base_,comdat
	.globl	_ZN9rocsparseL23sddmm_ell_sample_kernelILi16ELi32EflfEEvT2_S1_PKT3_lS1_PS2_PKS1_21rocsparse_index_base_ ; -- Begin function _ZN9rocsparseL23sddmm_ell_sample_kernelILi16ELi32EflfEEvT2_S1_PKT3_lS1_PS2_PKS1_21rocsparse_index_base_
	.p2align	8
	.type	_ZN9rocsparseL23sddmm_ell_sample_kernelILi16ELi32EflfEEvT2_S1_PKT3_lS1_PS2_PKS1_21rocsparse_index_base_,@function
_ZN9rocsparseL23sddmm_ell_sample_kernelILi16ELi32EflfEEvT2_S1_PKT3_lS1_PS2_PKS1_21rocsparse_index_base_: ; @_ZN9rocsparseL23sddmm_ell_sample_kernelILi16ELi32EflfEEvT2_S1_PKT3_lS1_PS2_PKS1_21rocsparse_index_base_
; %bb.0:
	s_load_dwordx4 s[0:3], s[4:5], 0x18
	v_lshrrev_b32_e32 v1, 5, v0
	v_lshl_or_b32 v2, s6, 4, v1
	v_mov_b32_e32 v1, 0
	v_mov_b32_e32 v3, v1
	s_waitcnt lgkmcnt(0)
	v_cmp_gt_i64_e32 vcc, s[2:3], v[2:3]
	s_and_saveexec_b64 s[2:3], vcc
	s_cbranch_execz .LBB36_6
; %bb.1:
	s_load_dwordx4 s[8:11], s[4:5], 0x0
	v_and_b32_e32 v0, 31, v0
	s_waitcnt lgkmcnt(0)
	v_cmp_gt_i64_e32 vcc, s[8:9], v[0:1]
	s_and_b64 exec, exec, vcc
	s_cbranch_execz .LBB36_6
; %bb.2:
	v_mad_u64_u32 v[4:5], s[2:3], s8, v2, v[0:1]
	s_load_dwordx4 s[12:15], s[4:5], 0x28
	s_load_dwordx2 s[16:17], s[4:5], 0x10
	s_load_dword s6, s[4:5], 0x38
	v_mov_b32_e32 v3, v5
	v_mad_u64_u32 v[2:3], s[2:3], s9, v2, v[3:4]
	s_waitcnt lgkmcnt(0)
	v_mov_b32_e32 v6, s15
	v_mov_b32_e32 v7, s17
	;; [unrolled: 1-line block ×3, first 2 shown]
	v_lshlrev_b64 v[2:3], 3, v[4:5]
	v_lshlrev_b64 v[4:5], 2, v[4:5]
	v_add_co_u32_e32 v2, vcc, s14, v2
	v_addc_co_u32_e32 v3, vcc, v6, v3, vcc
	v_mov_b32_e32 v6, s13
	v_add_co_u32_e32 v4, vcc, s12, v4
	v_addc_co_u32_e32 v5, vcc, v6, v5, vcc
	v_lshlrev_b32_e32 v6, 2, v0
	v_add_co_u32_e32 v6, vcc, s16, v6
	s_lshl_b64 s[2:3], s[0:1], 2
	v_addc_co_u32_e32 v7, vcc, 0, v7, vcc
	s_mov_b64 s[4:5], 0
	s_branch .LBB36_4
.LBB36_3:                               ;   in Loop: Header=BB36_4 Depth=1
	s_or_b64 exec, exec, s[0:1]
	v_add_co_u32_e32 v0, vcc, 32, v0
	v_addc_co_u32_e32 v1, vcc, 0, v1, vcc
	v_add_co_u32_e32 v2, vcc, 0x100, v2
	v_addc_co_u32_e32 v3, vcc, 0, v3, vcc
	;; [unrolled: 2-line block ×3, first 2 shown]
	v_cmp_le_i64_e64 s[0:1], s[8:9], v[0:1]
	v_add_co_u32_e32 v6, vcc, 0x80, v6
	s_or_b64 s[4:5], s[0:1], s[4:5]
	v_addc_co_u32_e32 v7, vcc, 0, v7, vcc
	s_andn2_b64 exec, exec, s[4:5]
	s_cbranch_execz .LBB36_6
.LBB36_4:                               ; =>This Inner Loop Header: Depth=1
	global_load_dwordx2 v[8:9], v[2:3], off
	s_waitcnt vmcnt(0)
	v_subrev_co_u32_e32 v8, vcc, s6, v8
	v_subbrev_co_u32_e32 v9, vcc, 0, v9, vcc
	v_cmp_lt_i64_e32 vcc, -1, v[8:9]
	v_cmp_gt_i64_e64 s[0:1], s[10:11], v[8:9]
	s_and_b64 s[12:13], vcc, s[0:1]
	s_and_saveexec_b64 s[0:1], s[12:13]
	s_cbranch_execz .LBB36_3
; %bb.5:                                ;   in Loop: Header=BB36_4 Depth=1
	v_mad_u64_u32 v[10:11], s[12:13], s2, v8, v[6:7]
	v_mul_lo_u32 v9, s2, v9
	v_mul_lo_u32 v8, s3, v8
	v_add3_u32 v11, v8, v11, v9
	global_load_dword v8, v[10:11], off
	s_waitcnt vmcnt(0)
	global_store_dword v[4:5], v8, off
	s_branch .LBB36_3
.LBB36_6:
	s_endpgm
	.section	.rodata,"a",@progbits
	.p2align	6, 0x0
	.amdhsa_kernel _ZN9rocsparseL23sddmm_ell_sample_kernelILi16ELi32EflfEEvT2_S1_PKT3_lS1_PS2_PKS1_21rocsparse_index_base_
		.amdhsa_group_segment_fixed_size 0
		.amdhsa_private_segment_fixed_size 0
		.amdhsa_kernarg_size 60
		.amdhsa_user_sgpr_count 6
		.amdhsa_user_sgpr_private_segment_buffer 1
		.amdhsa_user_sgpr_dispatch_ptr 0
		.amdhsa_user_sgpr_queue_ptr 0
		.amdhsa_user_sgpr_kernarg_segment_ptr 1
		.amdhsa_user_sgpr_dispatch_id 0
		.amdhsa_user_sgpr_flat_scratch_init 0
		.amdhsa_user_sgpr_private_segment_size 0
		.amdhsa_uses_dynamic_stack 0
		.amdhsa_system_sgpr_private_segment_wavefront_offset 0
		.amdhsa_system_sgpr_workgroup_id_x 1
		.amdhsa_system_sgpr_workgroup_id_y 0
		.amdhsa_system_sgpr_workgroup_id_z 0
		.amdhsa_system_sgpr_workgroup_info 0
		.amdhsa_system_vgpr_workitem_id 0
		.amdhsa_next_free_vgpr 12
		.amdhsa_next_free_sgpr 18
		.amdhsa_reserve_vcc 1
		.amdhsa_reserve_flat_scratch 0
		.amdhsa_float_round_mode_32 0
		.amdhsa_float_round_mode_16_64 0
		.amdhsa_float_denorm_mode_32 3
		.amdhsa_float_denorm_mode_16_64 3
		.amdhsa_dx10_clamp 1
		.amdhsa_ieee_mode 1
		.amdhsa_fp16_overflow 0
		.amdhsa_exception_fp_ieee_invalid_op 0
		.amdhsa_exception_fp_denorm_src 0
		.amdhsa_exception_fp_ieee_div_zero 0
		.amdhsa_exception_fp_ieee_overflow 0
		.amdhsa_exception_fp_ieee_underflow 0
		.amdhsa_exception_fp_ieee_inexact 0
		.amdhsa_exception_int_div_zero 0
	.end_amdhsa_kernel
	.section	.text._ZN9rocsparseL23sddmm_ell_sample_kernelILi16ELi32EflfEEvT2_S1_PKT3_lS1_PS2_PKS1_21rocsparse_index_base_,"axG",@progbits,_ZN9rocsparseL23sddmm_ell_sample_kernelILi16ELi32EflfEEvT2_S1_PKT3_lS1_PS2_PKS1_21rocsparse_index_base_,comdat
.Lfunc_end36:
	.size	_ZN9rocsparseL23sddmm_ell_sample_kernelILi16ELi32EflfEEvT2_S1_PKT3_lS1_PS2_PKS1_21rocsparse_index_base_, .Lfunc_end36-_ZN9rocsparseL23sddmm_ell_sample_kernelILi16ELi32EflfEEvT2_S1_PKT3_lS1_PS2_PKS1_21rocsparse_index_base_
                                        ; -- End function
	.set _ZN9rocsparseL23sddmm_ell_sample_kernelILi16ELi32EflfEEvT2_S1_PKT3_lS1_PS2_PKS1_21rocsparse_index_base_.num_vgpr, 12
	.set _ZN9rocsparseL23sddmm_ell_sample_kernelILi16ELi32EflfEEvT2_S1_PKT3_lS1_PS2_PKS1_21rocsparse_index_base_.num_agpr, 0
	.set _ZN9rocsparseL23sddmm_ell_sample_kernelILi16ELi32EflfEEvT2_S1_PKT3_lS1_PS2_PKS1_21rocsparse_index_base_.numbered_sgpr, 18
	.set _ZN9rocsparseL23sddmm_ell_sample_kernelILi16ELi32EflfEEvT2_S1_PKT3_lS1_PS2_PKS1_21rocsparse_index_base_.num_named_barrier, 0
	.set _ZN9rocsparseL23sddmm_ell_sample_kernelILi16ELi32EflfEEvT2_S1_PKT3_lS1_PS2_PKS1_21rocsparse_index_base_.private_seg_size, 0
	.set _ZN9rocsparseL23sddmm_ell_sample_kernelILi16ELi32EflfEEvT2_S1_PKT3_lS1_PS2_PKS1_21rocsparse_index_base_.uses_vcc, 1
	.set _ZN9rocsparseL23sddmm_ell_sample_kernelILi16ELi32EflfEEvT2_S1_PKT3_lS1_PS2_PKS1_21rocsparse_index_base_.uses_flat_scratch, 0
	.set _ZN9rocsparseL23sddmm_ell_sample_kernelILi16ELi32EflfEEvT2_S1_PKT3_lS1_PS2_PKS1_21rocsparse_index_base_.has_dyn_sized_stack, 0
	.set _ZN9rocsparseL23sddmm_ell_sample_kernelILi16ELi32EflfEEvT2_S1_PKT3_lS1_PS2_PKS1_21rocsparse_index_base_.has_recursion, 0
	.set _ZN9rocsparseL23sddmm_ell_sample_kernelILi16ELi32EflfEEvT2_S1_PKT3_lS1_PS2_PKS1_21rocsparse_index_base_.has_indirect_call, 0
	.section	.AMDGPU.csdata,"",@progbits
; Kernel info:
; codeLenInByte = 364
; TotalNumSgprs: 22
; NumVgprs: 12
; ScratchSize: 0
; MemoryBound: 0
; FloatMode: 240
; IeeeMode: 1
; LDSByteSize: 0 bytes/workgroup (compile time only)
; SGPRBlocks: 2
; VGPRBlocks: 2
; NumSGPRsForWavesPerEU: 22
; NumVGPRsForWavesPerEU: 12
; Occupancy: 10
; WaveLimiterHint : 1
; COMPUTE_PGM_RSRC2:SCRATCH_EN: 0
; COMPUTE_PGM_RSRC2:USER_SGPR: 6
; COMPUTE_PGM_RSRC2:TRAP_HANDLER: 0
; COMPUTE_PGM_RSRC2:TGID_X_EN: 1
; COMPUTE_PGM_RSRC2:TGID_Y_EN: 0
; COMPUTE_PGM_RSRC2:TGID_Z_EN: 0
; COMPUTE_PGM_RSRC2:TIDIG_COMP_CNT: 0
	.section	.text._ZN9rocsparseL23sddmm_ell_sample_kernelILi16ELi64EflfEEvT2_S1_PKT3_lS1_PS2_PKS1_21rocsparse_index_base_,"axG",@progbits,_ZN9rocsparseL23sddmm_ell_sample_kernelILi16ELi64EflfEEvT2_S1_PKT3_lS1_PS2_PKS1_21rocsparse_index_base_,comdat
	.globl	_ZN9rocsparseL23sddmm_ell_sample_kernelILi16ELi64EflfEEvT2_S1_PKT3_lS1_PS2_PKS1_21rocsparse_index_base_ ; -- Begin function _ZN9rocsparseL23sddmm_ell_sample_kernelILi16ELi64EflfEEvT2_S1_PKT3_lS1_PS2_PKS1_21rocsparse_index_base_
	.p2align	8
	.type	_ZN9rocsparseL23sddmm_ell_sample_kernelILi16ELi64EflfEEvT2_S1_PKT3_lS1_PS2_PKS1_21rocsparse_index_base_,@function
_ZN9rocsparseL23sddmm_ell_sample_kernelILi16ELi64EflfEEvT2_S1_PKT3_lS1_PS2_PKS1_21rocsparse_index_base_: ; @_ZN9rocsparseL23sddmm_ell_sample_kernelILi16ELi64EflfEEvT2_S1_PKT3_lS1_PS2_PKS1_21rocsparse_index_base_
; %bb.0:
	s_load_dwordx4 s[0:3], s[4:5], 0x18
	v_lshrrev_b32_e32 v1, 6, v0
	v_lshl_or_b32 v2, s6, 4, v1
	v_mov_b32_e32 v1, 0
	v_mov_b32_e32 v3, v1
	s_waitcnt lgkmcnt(0)
	v_cmp_gt_i64_e32 vcc, s[2:3], v[2:3]
	s_and_saveexec_b64 s[2:3], vcc
	s_cbranch_execz .LBB37_6
; %bb.1:
	s_load_dwordx4 s[8:11], s[4:5], 0x0
	v_and_b32_e32 v0, 63, v0
	s_waitcnt lgkmcnt(0)
	v_cmp_gt_i64_e32 vcc, s[8:9], v[0:1]
	s_and_b64 exec, exec, vcc
	s_cbranch_execz .LBB37_6
; %bb.2:
	v_mad_u64_u32 v[4:5], s[2:3], s8, v2, v[0:1]
	s_load_dwordx4 s[12:15], s[4:5], 0x28
	s_load_dwordx2 s[16:17], s[4:5], 0x10
	s_load_dword s6, s[4:5], 0x38
	v_mov_b32_e32 v3, v5
	v_mad_u64_u32 v[2:3], s[2:3], s9, v2, v[3:4]
	s_waitcnt lgkmcnt(0)
	v_mov_b32_e32 v6, s15
	v_mov_b32_e32 v7, s17
	;; [unrolled: 1-line block ×3, first 2 shown]
	v_lshlrev_b64 v[2:3], 3, v[4:5]
	v_lshlrev_b64 v[4:5], 2, v[4:5]
	v_add_co_u32_e32 v2, vcc, s14, v2
	v_addc_co_u32_e32 v3, vcc, v6, v3, vcc
	v_mov_b32_e32 v6, s13
	v_add_co_u32_e32 v4, vcc, s12, v4
	v_addc_co_u32_e32 v5, vcc, v6, v5, vcc
	v_lshlrev_b32_e32 v6, 2, v0
	v_add_co_u32_e32 v6, vcc, s16, v6
	s_lshl_b64 s[2:3], s[0:1], 2
	v_addc_co_u32_e32 v7, vcc, 0, v7, vcc
	s_mov_b64 s[4:5], 0
	s_branch .LBB37_4
.LBB37_3:                               ;   in Loop: Header=BB37_4 Depth=1
	s_or_b64 exec, exec, s[0:1]
	v_add_co_u32_e32 v0, vcc, 64, v0
	v_addc_co_u32_e32 v1, vcc, 0, v1, vcc
	v_add_co_u32_e32 v2, vcc, 0x200, v2
	v_addc_co_u32_e32 v3, vcc, 0, v3, vcc
	;; [unrolled: 2-line block ×3, first 2 shown]
	v_cmp_le_i64_e64 s[0:1], s[8:9], v[0:1]
	v_add_co_u32_e32 v6, vcc, 0x100, v6
	s_or_b64 s[4:5], s[0:1], s[4:5]
	v_addc_co_u32_e32 v7, vcc, 0, v7, vcc
	s_andn2_b64 exec, exec, s[4:5]
	s_cbranch_execz .LBB37_6
.LBB37_4:                               ; =>This Inner Loop Header: Depth=1
	global_load_dwordx2 v[8:9], v[2:3], off
	s_waitcnt vmcnt(0)
	v_subrev_co_u32_e32 v8, vcc, s6, v8
	v_subbrev_co_u32_e32 v9, vcc, 0, v9, vcc
	v_cmp_lt_i64_e32 vcc, -1, v[8:9]
	v_cmp_gt_i64_e64 s[0:1], s[10:11], v[8:9]
	s_and_b64 s[12:13], vcc, s[0:1]
	s_and_saveexec_b64 s[0:1], s[12:13]
	s_cbranch_execz .LBB37_3
; %bb.5:                                ;   in Loop: Header=BB37_4 Depth=1
	v_mad_u64_u32 v[10:11], s[12:13], s2, v8, v[6:7]
	v_mul_lo_u32 v9, s2, v9
	v_mul_lo_u32 v8, s3, v8
	v_add3_u32 v11, v8, v11, v9
	global_load_dword v8, v[10:11], off
	s_waitcnt vmcnt(0)
	global_store_dword v[4:5], v8, off
	s_branch .LBB37_3
.LBB37_6:
	s_endpgm
	.section	.rodata,"a",@progbits
	.p2align	6, 0x0
	.amdhsa_kernel _ZN9rocsparseL23sddmm_ell_sample_kernelILi16ELi64EflfEEvT2_S1_PKT3_lS1_PS2_PKS1_21rocsparse_index_base_
		.amdhsa_group_segment_fixed_size 0
		.amdhsa_private_segment_fixed_size 0
		.amdhsa_kernarg_size 60
		.amdhsa_user_sgpr_count 6
		.amdhsa_user_sgpr_private_segment_buffer 1
		.amdhsa_user_sgpr_dispatch_ptr 0
		.amdhsa_user_sgpr_queue_ptr 0
		.amdhsa_user_sgpr_kernarg_segment_ptr 1
		.amdhsa_user_sgpr_dispatch_id 0
		.amdhsa_user_sgpr_flat_scratch_init 0
		.amdhsa_user_sgpr_private_segment_size 0
		.amdhsa_uses_dynamic_stack 0
		.amdhsa_system_sgpr_private_segment_wavefront_offset 0
		.amdhsa_system_sgpr_workgroup_id_x 1
		.amdhsa_system_sgpr_workgroup_id_y 0
		.amdhsa_system_sgpr_workgroup_id_z 0
		.amdhsa_system_sgpr_workgroup_info 0
		.amdhsa_system_vgpr_workitem_id 0
		.amdhsa_next_free_vgpr 12
		.amdhsa_next_free_sgpr 18
		.amdhsa_reserve_vcc 1
		.amdhsa_reserve_flat_scratch 0
		.amdhsa_float_round_mode_32 0
		.amdhsa_float_round_mode_16_64 0
		.amdhsa_float_denorm_mode_32 3
		.amdhsa_float_denorm_mode_16_64 3
		.amdhsa_dx10_clamp 1
		.amdhsa_ieee_mode 1
		.amdhsa_fp16_overflow 0
		.amdhsa_exception_fp_ieee_invalid_op 0
		.amdhsa_exception_fp_denorm_src 0
		.amdhsa_exception_fp_ieee_div_zero 0
		.amdhsa_exception_fp_ieee_overflow 0
		.amdhsa_exception_fp_ieee_underflow 0
		.amdhsa_exception_fp_ieee_inexact 0
		.amdhsa_exception_int_div_zero 0
	.end_amdhsa_kernel
	.section	.text._ZN9rocsparseL23sddmm_ell_sample_kernelILi16ELi64EflfEEvT2_S1_PKT3_lS1_PS2_PKS1_21rocsparse_index_base_,"axG",@progbits,_ZN9rocsparseL23sddmm_ell_sample_kernelILi16ELi64EflfEEvT2_S1_PKT3_lS1_PS2_PKS1_21rocsparse_index_base_,comdat
.Lfunc_end37:
	.size	_ZN9rocsparseL23sddmm_ell_sample_kernelILi16ELi64EflfEEvT2_S1_PKT3_lS1_PS2_PKS1_21rocsparse_index_base_, .Lfunc_end37-_ZN9rocsparseL23sddmm_ell_sample_kernelILi16ELi64EflfEEvT2_S1_PKT3_lS1_PS2_PKS1_21rocsparse_index_base_
                                        ; -- End function
	.set _ZN9rocsparseL23sddmm_ell_sample_kernelILi16ELi64EflfEEvT2_S1_PKT3_lS1_PS2_PKS1_21rocsparse_index_base_.num_vgpr, 12
	.set _ZN9rocsparseL23sddmm_ell_sample_kernelILi16ELi64EflfEEvT2_S1_PKT3_lS1_PS2_PKS1_21rocsparse_index_base_.num_agpr, 0
	.set _ZN9rocsparseL23sddmm_ell_sample_kernelILi16ELi64EflfEEvT2_S1_PKT3_lS1_PS2_PKS1_21rocsparse_index_base_.numbered_sgpr, 18
	.set _ZN9rocsparseL23sddmm_ell_sample_kernelILi16ELi64EflfEEvT2_S1_PKT3_lS1_PS2_PKS1_21rocsparse_index_base_.num_named_barrier, 0
	.set _ZN9rocsparseL23sddmm_ell_sample_kernelILi16ELi64EflfEEvT2_S1_PKT3_lS1_PS2_PKS1_21rocsparse_index_base_.private_seg_size, 0
	.set _ZN9rocsparseL23sddmm_ell_sample_kernelILi16ELi64EflfEEvT2_S1_PKT3_lS1_PS2_PKS1_21rocsparse_index_base_.uses_vcc, 1
	.set _ZN9rocsparseL23sddmm_ell_sample_kernelILi16ELi64EflfEEvT2_S1_PKT3_lS1_PS2_PKS1_21rocsparse_index_base_.uses_flat_scratch, 0
	.set _ZN9rocsparseL23sddmm_ell_sample_kernelILi16ELi64EflfEEvT2_S1_PKT3_lS1_PS2_PKS1_21rocsparse_index_base_.has_dyn_sized_stack, 0
	.set _ZN9rocsparseL23sddmm_ell_sample_kernelILi16ELi64EflfEEvT2_S1_PKT3_lS1_PS2_PKS1_21rocsparse_index_base_.has_recursion, 0
	.set _ZN9rocsparseL23sddmm_ell_sample_kernelILi16ELi64EflfEEvT2_S1_PKT3_lS1_PS2_PKS1_21rocsparse_index_base_.has_indirect_call, 0
	.section	.AMDGPU.csdata,"",@progbits
; Kernel info:
; codeLenInByte = 364
; TotalNumSgprs: 22
; NumVgprs: 12
; ScratchSize: 0
; MemoryBound: 0
; FloatMode: 240
; IeeeMode: 1
; LDSByteSize: 0 bytes/workgroup (compile time only)
; SGPRBlocks: 2
; VGPRBlocks: 2
; NumSGPRsForWavesPerEU: 22
; NumVGPRsForWavesPerEU: 12
; Occupancy: 10
; WaveLimiterHint : 1
; COMPUTE_PGM_RSRC2:SCRATCH_EN: 0
; COMPUTE_PGM_RSRC2:USER_SGPR: 6
; COMPUTE_PGM_RSRC2:TRAP_HANDLER: 0
; COMPUTE_PGM_RSRC2:TGID_X_EN: 1
; COMPUTE_PGM_RSRC2:TGID_Y_EN: 0
; COMPUTE_PGM_RSRC2:TGID_Z_EN: 0
; COMPUTE_PGM_RSRC2:TIDIG_COMP_CNT: 0
	.section	.text._ZN9rocsparseL16sddmm_ell_kernelILi512ELi8EfllfffEEv20rocsparse_operation_S1_16rocsparse_order_S2_T3_S3_S3_T2_NS_24const_host_device_scalarIT1_EEPKT4_lPKT5_lS7_PT6_PKS3_21rocsparse_index_base_b,"axG",@progbits,_ZN9rocsparseL16sddmm_ell_kernelILi512ELi8EfllfffEEv20rocsparse_operation_S1_16rocsparse_order_S2_T3_S3_S3_T2_NS_24const_host_device_scalarIT1_EEPKT4_lPKT5_lS7_PT6_PKS3_21rocsparse_index_base_b,comdat
	.globl	_ZN9rocsparseL16sddmm_ell_kernelILi512ELi8EfllfffEEv20rocsparse_operation_S1_16rocsparse_order_S2_T3_S3_S3_T2_NS_24const_host_device_scalarIT1_EEPKT4_lPKT5_lS7_PT6_PKS3_21rocsparse_index_base_b ; -- Begin function _ZN9rocsparseL16sddmm_ell_kernelILi512ELi8EfllfffEEv20rocsparse_operation_S1_16rocsparse_order_S2_T3_S3_S3_T2_NS_24const_host_device_scalarIT1_EEPKT4_lPKT5_lS7_PT6_PKS3_21rocsparse_index_base_b
	.p2align	8
	.type	_ZN9rocsparseL16sddmm_ell_kernelILi512ELi8EfllfffEEv20rocsparse_operation_S1_16rocsparse_order_S2_T3_S3_S3_T2_NS_24const_host_device_scalarIT1_EEPKT4_lPKT5_lS7_PT6_PKS3_21rocsparse_index_base_b,@function
_ZN9rocsparseL16sddmm_ell_kernelILi512ELi8EfllfffEEv20rocsparse_operation_S1_16rocsparse_order_S2_T3_S3_S3_T2_NS_24const_host_device_scalarIT1_EEPKT4_lPKT5_lS7_PT6_PKS3_21rocsparse_index_base_b: ; @_ZN9rocsparseL16sddmm_ell_kernelILi512ELi8EfllfffEEv20rocsparse_operation_S1_16rocsparse_order_S2_T3_S3_S3_T2_NS_24const_host_device_scalarIT1_EEPKT4_lPKT5_lS7_PT6_PKS3_21rocsparse_index_base_b
; %bb.0:
	s_load_dwordx2 s[18:19], s[4:5], 0x70
	s_load_dwordx2 s[16:17], s[4:5], 0x30
	s_load_dwordx4 s[8:11], s[4:5], 0x50
	s_waitcnt lgkmcnt(0)
	s_bitcmp1_b32 s19, 0
	s_cselect_b64 s[2:3], -1, 0
	s_xor_b64 s[0:1], s[2:3], -1
	s_and_b64 vcc, exec, s[2:3]
	s_cbranch_vccnz .LBB38_2
; %bb.1:
	s_load_dword s16, s[16:17], 0x0
.LBB38_2:
	s_andn2_b64 vcc, exec, s[0:1]
	s_cbranch_vccnz .LBB38_4
; %bb.3:
	s_load_dword s10, s[10:11], 0x0
.LBB38_4:
	s_waitcnt lgkmcnt(0)
	v_cmp_eq_f32_e64 s[0:1], s16, 0
	v_cmp_eq_f32_e64 s[2:3], s10, 1.0
	s_and_b64 s[0:1], s[0:1], s[2:3]
	s_and_b64 vcc, exec, s[0:1]
	s_cbranch_vccnz .LBB38_39
; %bb.5:
	s_load_dwordx4 s[12:15], s[4:5], 0x20
	v_lshrrev_b32_e32 v11, 3, v0
	v_lshl_or_b32 v1, s6, 6, v11
	v_mov_b32_e32 v2, 0
	s_waitcnt lgkmcnt(0)
	v_cmp_gt_i64_e32 vcc, s[14:15], v[1:2]
	s_and_saveexec_b64 s[0:1], vcc
	s_cbranch_execz .LBB38_39
; %bb.6:
	s_load_dwordx2 s[14:15], s[4:5], 0x10
	s_load_dwordx2 s[6:7], s[4:5], 0x68
	s_mov_b32 s0, 0
                                        ; implicit-def: $vgpr7_vgpr8
	s_waitcnt lgkmcnt(0)
	s_mov_b32 s1, s15
	s_cmp_lg_u64 s[0:1], 0
	s_cselect_b64 s[0:1], -1, 0
	s_and_saveexec_b64 s[2:3], s[0:1]
	s_xor_b64 s[20:21], exec, s[2:3]
	s_cbranch_execz .LBB38_8
; %bb.7:
	s_ashr_i32 s0, s15, 31
	s_add_u32 s2, s14, s0
	s_mov_b32 s1, s0
	s_addc_u32 s3, s15, s0
	s_xor_b64 s[22:23], s[2:3], s[0:1]
	v_cvt_f32_u32_e32 v3, s22
	v_cvt_f32_u32_e32 v4, s23
	s_sub_u32 s2, 0, s22
	s_subb_u32 s3, 0, s23
	v_add_co_u32_e32 v7, vcc, 0, v1
	v_madmk_f32 v3, v4, 0x4f800000, v3
	v_rcp_f32_e32 v3, v3
	v_mul_f32_e32 v3, 0x5f7ffffc, v3
	v_mul_f32_e32 v4, 0x2f800000, v3
	v_trunc_f32_e32 v4, v4
	v_madmk_f32 v3, v4, 0xcf800000, v3
	v_cvt_u32_f32_e32 v4, v4
	v_cvt_u32_f32_e32 v3, v3
	v_readfirstlane_b32 s11, v4
	v_readfirstlane_b32 s0, v3
	s_mul_i32 s1, s2, s11
	s_mul_hi_u32 s17, s2, s0
	s_mul_i32 s15, s3, s0
	s_add_i32 s1, s17, s1
	s_add_i32 s1, s1, s15
	s_mul_i32 s19, s2, s0
	s_mul_i32 s17, s0, s1
	s_mul_hi_u32 s24, s0, s19
	s_mul_hi_u32 s15, s0, s1
	s_add_u32 s17, s24, s17
	s_addc_u32 s15, 0, s15
	s_mul_hi_u32 s25, s11, s19
	s_mul_i32 s19, s11, s19
	s_add_u32 s17, s17, s19
	s_mul_hi_u32 s24, s11, s1
	s_addc_u32 s15, s15, s25
	s_addc_u32 s17, s24, 0
	s_mul_i32 s1, s11, s1
	s_add_u32 s1, s15, s1
	s_addc_u32 s15, 0, s17
	s_add_u32 s17, s0, s1
	s_cselect_b64 s[0:1], -1, 0
	s_cmp_lg_u64 s[0:1], 0
	s_addc_u32 s11, s11, s15
	s_mul_i32 s0, s2, s11
	s_mul_hi_u32 s1, s2, s17
	s_add_i32 s0, s1, s0
	s_mul_i32 s3, s3, s17
	s_add_i32 s0, s0, s3
	s_mul_i32 s2, s2, s17
	s_mul_hi_u32 s3, s11, s2
	s_mul_i32 s15, s11, s2
	s_mul_i32 s24, s17, s0
	s_mul_hi_u32 s2, s17, s2
	s_mul_hi_u32 s19, s17, s0
	s_add_u32 s2, s2, s24
	s_addc_u32 s19, 0, s19
	s_add_u32 s2, s2, s15
	s_mul_hi_u32 s1, s11, s0
	s_addc_u32 s2, s19, s3
	s_addc_u32 s1, s1, 0
	s_mul_i32 s0, s11, s0
	s_add_u32 s0, s2, s0
	s_addc_u32 s2, 0, s1
	s_add_u32 s3, s17, s0
	s_cselect_b64 s[0:1], -1, 0
	s_cmp_lg_u64 s[0:1], 0
	s_addc_u32 s2, s11, s2
	v_mad_u64_u32 v[3:4], s[0:1], v7, s2, 0
	v_mul_hi_u32 v5, v7, s3
	v_addc_co_u32_e64 v8, s[0:1], 0, 0, vcc
	v_add_co_u32_e32 v9, vcc, v5, v3
	v_addc_co_u32_e32 v10, vcc, 0, v4, vcc
	v_mad_u64_u32 v[3:4], s[0:1], v8, s3, 0
	v_mad_u64_u32 v[5:6], s[0:1], v8, s2, 0
	v_add_co_u32_e32 v3, vcc, v9, v3
	v_addc_co_u32_e32 v3, vcc, v10, v4, vcc
	v_addc_co_u32_e32 v4, vcc, 0, v6, vcc
	v_add_co_u32_e32 v3, vcc, v3, v5
	v_addc_co_u32_e32 v4, vcc, 0, v4, vcc
	v_mul_lo_u32 v5, s23, v3
	v_mul_lo_u32 v6, s22, v4
	v_mad_u64_u32 v[3:4], s[0:1], s22, v3, 0
	v_add3_u32 v4, v4, v6, v5
	v_sub_u32_e32 v5, v8, v4
	v_mov_b32_e32 v6, s23
	v_sub_co_u32_e32 v3, vcc, v7, v3
	v_subb_co_u32_e64 v5, s[0:1], v5, v6, vcc
	v_subrev_co_u32_e64 v7, s[0:1], s22, v3
	v_subbrev_co_u32_e64 v9, s[2:3], 0, v5, s[0:1]
	v_cmp_le_u32_e64 s[2:3], s23, v9
	v_cndmask_b32_e64 v10, 0, -1, s[2:3]
	v_cmp_le_u32_e64 s[2:3], s22, v7
	v_subb_co_u32_e64 v5, s[0:1], v5, v6, s[0:1]
	v_cndmask_b32_e64 v12, 0, -1, s[2:3]
	v_cmp_eq_u32_e64 s[2:3], s23, v9
	v_subrev_co_u32_e64 v6, s[0:1], s22, v7
	v_subb_co_u32_e32 v4, vcc, v8, v4, vcc
	v_cndmask_b32_e64 v10, v10, v12, s[2:3]
	v_subbrev_co_u32_e64 v5, s[0:1], 0, v5, s[0:1]
	v_cmp_le_u32_e32 vcc, s23, v4
	v_cmp_ne_u32_e64 s[0:1], 0, v10
	v_cndmask_b32_e64 v8, 0, -1, vcc
	v_cmp_le_u32_e32 vcc, s22, v3
	v_cndmask_b32_e64 v5, v9, v5, s[0:1]
	v_cndmask_b32_e64 v9, 0, -1, vcc
	v_cmp_eq_u32_e32 vcc, s23, v4
	v_cndmask_b32_e32 v8, v8, v9, vcc
	v_cmp_ne_u32_e32 vcc, 0, v8
	v_cndmask_b32_e32 v4, v4, v5, vcc
	v_cndmask_b32_e64 v5, v7, v6, s[0:1]
	v_cndmask_b32_e32 v3, v3, v5, vcc
	v_subrev_co_u32_e32 v7, vcc, 0, v3
	v_subbrev_co_u32_e32 v8, vcc, 0, v4, vcc
.LBB38_8:
	s_andn2_saveexec_b64 s[0:1], s[20:21]
	s_cbranch_execz .LBB38_10
; %bb.9:
	v_cvt_f32_u32_e32 v3, s14
	s_sub_i32 s2, 0, s14
	v_mov_b32_e32 v8, 0
	v_rcp_iflag_f32_e32 v3, v3
	v_mul_f32_e32 v3, 0x4f7ffffe, v3
	v_cvt_u32_f32_e32 v3, v3
	v_mul_lo_u32 v4, s2, v3
	v_mul_hi_u32 v4, v3, v4
	v_add_u32_e32 v3, v3, v4
	v_mul_hi_u32 v3, v1, v3
	v_mul_lo_u32 v3, v3, s14
	v_sub_u32_e32 v3, v1, v3
	v_subrev_u32_e32 v4, s14, v3
	v_cmp_le_u32_e32 vcc, s14, v3
	v_cndmask_b32_e32 v3, v3, v4, vcc
	v_subrev_u32_e32 v4, s14, v3
	v_cmp_le_u32_e32 vcc, s14, v3
	v_cndmask_b32_e32 v7, v3, v4, vcc
.LBB38_10:
	s_or_b64 exec, exec, s[0:1]
	v_lshlrev_b64 v[3:4], 3, v[1:2]
	v_mov_b32_e32 v5, s7
	v_add_co_u32_e32 v3, vcc, s6, v3
	v_addc_co_u32_e32 v4, vcc, v5, v4, vcc
	global_load_dwordx2 v[3:4], v[3:4], off
	s_mov_b64 s[22:23], -1
	s_waitcnt vmcnt(0)
	v_subrev_co_u32_e32 v3, vcc, s18, v3
	v_subbrev_co_u32_e32 v4, vcc, 0, v4, vcc
	v_cmp_lt_i64_e32 vcc, -1, v[3:4]
	s_and_b64 exec, exec, vcc
	s_cbranch_execz .LBB38_39
; %bb.11:
	s_load_dwordx4 s[0:3], s[4:5], 0x0
	s_load_dwordx2 s[6:7], s[4:5], 0x40
                                        ; implicit-def: $vgpr5_vgpr6
	s_waitcnt lgkmcnt(0)
	s_cmp_eq_u32 s2, 1
	s_cselect_b64 s[14:15], -1, 0
	s_cmpk_eq_i32 s0, 0x6f
	s_cselect_b64 s[18:19], -1, 0
	s_cmpk_lg_i32 s0, 0x6f
	s_cselect_b64 s[20:21], -1, 0
	s_cmp_lg_u32 s2, 1
	s_cbranch_scc0 .LBB38_15
; %bb.12:
	v_mov_b32_e32 v5, v7
	s_andn2_b64 vcc, exec, s[18:19]
	v_mov_b32_e32 v6, v8
	s_cbranch_vccnz .LBB38_14
; %bb.13:
	v_mul_lo_u32 v9, v8, s6
	v_mul_lo_u32 v10, v7, s7
	v_mad_u64_u32 v[5:6], s[22:23], v7, s6, 0
	v_add3_u32 v6, v6, v10, v9
.LBB38_14:
	s_mov_b64 s[22:23], 0
.LBB38_15:
	s_andn2_b64 vcc, exec, s[22:23]
	s_cbranch_vccnz .LBB38_19
; %bb.16:
	s_andn2_b64 vcc, exec, s[20:21]
	s_cbranch_vccnz .LBB38_18
; %bb.17:
	v_mul_lo_u32 v5, v8, s6
	v_mul_lo_u32 v6, v7, s7
	v_mad_u64_u32 v[7:8], s[20:21], v7, s6, 0
	v_add3_u32 v8, v8, v6, v5
.LBB38_18:
	v_mov_b32_e32 v5, v7
	v_mov_b32_e32 v6, v8
.LBB38_19:
	s_cmp_eq_u32 s3, 1
	s_cselect_b64 s[22:23], -1, 0
	s_cmpk_eq_i32 s1, 0x6f
	s_cselect_b64 s[24:25], -1, 0
	s_cmpk_lg_i32 s1, 0x6f
	s_cselect_b64 s[0:1], -1, 0
	s_cmp_lg_u32 s3, 1
	s_cbranch_scc0 .LBB38_23
; %bb.20:
	v_mov_b32_e32 v8, v4
	s_andn2_b64 vcc, exec, s[0:1]
	v_mov_b32_e32 v7, v3
	s_cbranch_vccnz .LBB38_22
; %bb.21:
	v_mul_lo_u32 v9, v4, s8
	v_mul_lo_u32 v10, v3, s9
	v_mad_u64_u32 v[7:8], s[0:1], v3, s8, 0
	v_add3_u32 v8, v8, v10, v9
.LBB38_22:
	s_cbranch_execz .LBB38_24
	s_branch .LBB38_27
.LBB38_23:
                                        ; implicit-def: $vgpr7_vgpr8
.LBB38_24:
	s_andn2_b64 vcc, exec, s[24:25]
	s_cbranch_vccnz .LBB38_26
; %bb.25:
	v_mul_lo_u32 v7, v4, s8
	v_mul_lo_u32 v8, v3, s9
	v_mad_u64_u32 v[3:4], s[0:1], v3, s8, 0
	v_add3_u32 v4, v4, v8, v7
.LBB38_26:
	v_mov_b32_e32 v8, v4
	v_mov_b32_e32 v7, v3
.LBB38_27:
	s_load_dwordx2 s[2:3], s[4:5], 0x60
	v_and_b32_e32 v3, 7, v0
	v_mov_b32_e32 v4, 0
	v_cmp_gt_i64_e32 vcc, s[12:13], v[3:4]
	s_and_saveexec_b64 s[20:21], vcc
	s_cbranch_execz .LBB38_31
; %bb.28:
	s_xor_b64 s[0:1], s[18:19], s[14:15]
	s_and_b64 s[0:1], s[0:1], exec
	s_cselect_b32 s1, 0, s7
	s_cselect_b32 s0, 1, s6
	s_xor_b64 s[6:7], s[24:25], s[22:23]
	s_and_b64 s[6:7], s[6:7], exec
	s_cselect_b32 s6, s8, 1
	v_mad_u64_u32 v[9:10], s[14:15], s6, v3, 0
	s_cselect_b32 s7, s9, 0
	v_lshlrev_b64 v[7:8], 2, v[7:8]
	v_mov_b32_e32 v0, v10
	v_mad_u64_u32 v[12:13], s[8:9], s7, v3, v[0:1]
	s_load_dwordx2 s[8:9], s[4:5], 0x38
	s_load_dwordx2 s[14:15], s[4:5], 0x48
	v_lshlrev_b64 v[5:6], 2, v[5:6]
	v_mov_b32_e32 v10, v12
	v_mad_u64_u32 v[12:13], s[4:5], s0, v3, 0
	v_lshlrev_b64 v[9:10], 2, v[9:10]
	s_waitcnt lgkmcnt(0)
	v_mov_b32_e32 v14, s15
	v_add_co_u32_e32 v7, vcc, v9, v7
	v_mov_b32_e32 v0, v13
	v_addc_co_u32_e32 v8, vcc, v10, v8, vcc
	v_mad_u64_u32 v[9:10], s[4:5], s1, v3, v[0:1]
	v_add_co_u32_e32 v7, vcc, s14, v7
	v_mov_b32_e32 v13, v9
	v_lshlrev_b64 v[9:10], 2, v[12:13]
	v_addc_co_u32_e32 v8, vcc, v14, v8, vcc
	v_add_co_u32_e32 v0, vcc, v9, v5
	v_addc_co_u32_e32 v6, vcc, v10, v6, vcc
	v_mov_b32_e32 v9, s9
	v_add_co_u32_e32 v5, vcc, s8, v0
	v_addc_co_u32_e32 v6, vcc, v9, v6, vcc
	v_mov_b32_e32 v0, 0
	v_mov_b32_e32 v10, v4
	s_lshl_b64 s[4:5], s[6:7], 5
	s_lshl_b64 s[6:7], s[0:1], 5
	s_mov_b64 s[8:9], 0
	v_mov_b32_e32 v9, v3
	v_mov_b32_e32 v4, v0
.LBB38_29:                              ; =>This Inner Loop Header: Depth=1
	global_load_dword v0, v[5:6], off
	global_load_dword v12, v[7:8], off
	v_add_co_u32_e32 v9, vcc, 8, v9
	v_mov_b32_e32 v13, s5
	v_add_co_u32_e64 v7, s[0:1], s4, v7
	v_addc_co_u32_e32 v10, vcc, 0, v10, vcc
	v_addc_co_u32_e64 v8, s[0:1], v8, v13, s[0:1]
	v_cmp_le_i64_e64 s[0:1], s[12:13], v[9:10]
	v_mov_b32_e32 v14, s7
	v_add_co_u32_e32 v5, vcc, s6, v5
	v_addc_co_u32_e32 v6, vcc, v6, v14, vcc
	s_or_b64 s[8:9], s[0:1], s[8:9]
	s_waitcnt vmcnt(0)
	v_fmac_f32_e32 v4, v0, v12
	s_andn2_b64 exec, exec, s[8:9]
	s_cbranch_execnz .LBB38_29
; %bb.30:
	s_or_b64 exec, exec, s[8:9]
.LBB38_31:
	s_or_b64 exec, exec, s[20:21]
	v_lshlrev_b32_e32 v0, 5, v11
	v_lshl_or_b32 v5, v3, 2, v0
	v_cmp_gt_u32_e32 vcc, 4, v3
	ds_write_b32 v5, v4
	s_waitcnt lgkmcnt(0)
	s_barrier
	s_and_saveexec_b64 s[0:1], vcc
	s_cbranch_execz .LBB38_33
; %bb.32:
	ds_read2_b32 v[6:7], v5 offset1:4
	s_waitcnt lgkmcnt(0)
	v_add_f32_e32 v4, v7, v6
	ds_write_b32 v5, v4
.LBB38_33:
	s_or_b64 exec, exec, s[0:1]
	v_cmp_gt_u32_e32 vcc, 2, v3
	s_waitcnt lgkmcnt(0)
	s_barrier
	s_and_saveexec_b64 s[0:1], vcc
	s_cbranch_execz .LBB38_35
; %bb.34:
	ds_read2_b32 v[6:7], v5 offset1:2
	s_waitcnt lgkmcnt(0)
	v_add_f32_e32 v4, v7, v6
	ds_write_b32 v5, v4
.LBB38_35:
	s_or_b64 exec, exec, s[0:1]
	v_cmp_eq_u32_e32 vcc, 0, v3
	s_waitcnt lgkmcnt(0)
	s_barrier
	s_and_saveexec_b64 s[0:1], vcc
	s_cbranch_execz .LBB38_37
; %bb.36:
	ds_read2_b32 v[3:4], v5 offset1:1
	s_waitcnt lgkmcnt(0)
	v_add_f32_e32 v3, v4, v3
	ds_write_b32 v5, v3
.LBB38_37:
	s_or_b64 exec, exec, s[0:1]
	s_waitcnt lgkmcnt(0)
	s_barrier
	s_and_b64 exec, exec, vcc
	s_cbranch_execz .LBB38_39
; %bb.38:
	v_lshlrev_b64 v[1:2], 2, v[1:2]
	v_mov_b32_e32 v3, s3
	v_add_co_u32_e32 v1, vcc, s2, v1
	v_addc_co_u32_e32 v2, vcc, v3, v2, vcc
	global_load_dword v3, v[1:2], off
	ds_read_b32 v0, v0
	s_waitcnt lgkmcnt(0)
	v_mul_f32_e32 v0, s16, v0
	s_waitcnt vmcnt(0)
	v_fmac_f32_e32 v0, s10, v3
	global_store_dword v[1:2], v0, off
.LBB38_39:
	s_endpgm
	.section	.rodata,"a",@progbits
	.p2align	6, 0x0
	.amdhsa_kernel _ZN9rocsparseL16sddmm_ell_kernelILi512ELi8EfllfffEEv20rocsparse_operation_S1_16rocsparse_order_S2_T3_S3_S3_T2_NS_24const_host_device_scalarIT1_EEPKT4_lPKT5_lS7_PT6_PKS3_21rocsparse_index_base_b
		.amdhsa_group_segment_fixed_size 2048
		.amdhsa_private_segment_fixed_size 0
		.amdhsa_kernarg_size 120
		.amdhsa_user_sgpr_count 6
		.amdhsa_user_sgpr_private_segment_buffer 1
		.amdhsa_user_sgpr_dispatch_ptr 0
		.amdhsa_user_sgpr_queue_ptr 0
		.amdhsa_user_sgpr_kernarg_segment_ptr 1
		.amdhsa_user_sgpr_dispatch_id 0
		.amdhsa_user_sgpr_flat_scratch_init 0
		.amdhsa_user_sgpr_private_segment_size 0
		.amdhsa_uses_dynamic_stack 0
		.amdhsa_system_sgpr_private_segment_wavefront_offset 0
		.amdhsa_system_sgpr_workgroup_id_x 1
		.amdhsa_system_sgpr_workgroup_id_y 0
		.amdhsa_system_sgpr_workgroup_id_z 0
		.amdhsa_system_sgpr_workgroup_info 0
		.amdhsa_system_vgpr_workitem_id 0
		.amdhsa_next_free_vgpr 15
		.amdhsa_next_free_sgpr 26
		.amdhsa_reserve_vcc 1
		.amdhsa_reserve_flat_scratch 0
		.amdhsa_float_round_mode_32 0
		.amdhsa_float_round_mode_16_64 0
		.amdhsa_float_denorm_mode_32 3
		.amdhsa_float_denorm_mode_16_64 3
		.amdhsa_dx10_clamp 1
		.amdhsa_ieee_mode 1
		.amdhsa_fp16_overflow 0
		.amdhsa_exception_fp_ieee_invalid_op 0
		.amdhsa_exception_fp_denorm_src 0
		.amdhsa_exception_fp_ieee_div_zero 0
		.amdhsa_exception_fp_ieee_overflow 0
		.amdhsa_exception_fp_ieee_underflow 0
		.amdhsa_exception_fp_ieee_inexact 0
		.amdhsa_exception_int_div_zero 0
	.end_amdhsa_kernel
	.section	.text._ZN9rocsparseL16sddmm_ell_kernelILi512ELi8EfllfffEEv20rocsparse_operation_S1_16rocsparse_order_S2_T3_S3_S3_T2_NS_24const_host_device_scalarIT1_EEPKT4_lPKT5_lS7_PT6_PKS3_21rocsparse_index_base_b,"axG",@progbits,_ZN9rocsparseL16sddmm_ell_kernelILi512ELi8EfllfffEEv20rocsparse_operation_S1_16rocsparse_order_S2_T3_S3_S3_T2_NS_24const_host_device_scalarIT1_EEPKT4_lPKT5_lS7_PT6_PKS3_21rocsparse_index_base_b,comdat
.Lfunc_end38:
	.size	_ZN9rocsparseL16sddmm_ell_kernelILi512ELi8EfllfffEEv20rocsparse_operation_S1_16rocsparse_order_S2_T3_S3_S3_T2_NS_24const_host_device_scalarIT1_EEPKT4_lPKT5_lS7_PT6_PKS3_21rocsparse_index_base_b, .Lfunc_end38-_ZN9rocsparseL16sddmm_ell_kernelILi512ELi8EfllfffEEv20rocsparse_operation_S1_16rocsparse_order_S2_T3_S3_S3_T2_NS_24const_host_device_scalarIT1_EEPKT4_lPKT5_lS7_PT6_PKS3_21rocsparse_index_base_b
                                        ; -- End function
	.set _ZN9rocsparseL16sddmm_ell_kernelILi512ELi8EfllfffEEv20rocsparse_operation_S1_16rocsparse_order_S2_T3_S3_S3_T2_NS_24const_host_device_scalarIT1_EEPKT4_lPKT5_lS7_PT6_PKS3_21rocsparse_index_base_b.num_vgpr, 15
	.set _ZN9rocsparseL16sddmm_ell_kernelILi512ELi8EfllfffEEv20rocsparse_operation_S1_16rocsparse_order_S2_T3_S3_S3_T2_NS_24const_host_device_scalarIT1_EEPKT4_lPKT5_lS7_PT6_PKS3_21rocsparse_index_base_b.num_agpr, 0
	.set _ZN9rocsparseL16sddmm_ell_kernelILi512ELi8EfllfffEEv20rocsparse_operation_S1_16rocsparse_order_S2_T3_S3_S3_T2_NS_24const_host_device_scalarIT1_EEPKT4_lPKT5_lS7_PT6_PKS3_21rocsparse_index_base_b.numbered_sgpr, 26
	.set _ZN9rocsparseL16sddmm_ell_kernelILi512ELi8EfllfffEEv20rocsparse_operation_S1_16rocsparse_order_S2_T3_S3_S3_T2_NS_24const_host_device_scalarIT1_EEPKT4_lPKT5_lS7_PT6_PKS3_21rocsparse_index_base_b.num_named_barrier, 0
	.set _ZN9rocsparseL16sddmm_ell_kernelILi512ELi8EfllfffEEv20rocsparse_operation_S1_16rocsparse_order_S2_T3_S3_S3_T2_NS_24const_host_device_scalarIT1_EEPKT4_lPKT5_lS7_PT6_PKS3_21rocsparse_index_base_b.private_seg_size, 0
	.set _ZN9rocsparseL16sddmm_ell_kernelILi512ELi8EfllfffEEv20rocsparse_operation_S1_16rocsparse_order_S2_T3_S3_S3_T2_NS_24const_host_device_scalarIT1_EEPKT4_lPKT5_lS7_PT6_PKS3_21rocsparse_index_base_b.uses_vcc, 1
	.set _ZN9rocsparseL16sddmm_ell_kernelILi512ELi8EfllfffEEv20rocsparse_operation_S1_16rocsparse_order_S2_T3_S3_S3_T2_NS_24const_host_device_scalarIT1_EEPKT4_lPKT5_lS7_PT6_PKS3_21rocsparse_index_base_b.uses_flat_scratch, 0
	.set _ZN9rocsparseL16sddmm_ell_kernelILi512ELi8EfllfffEEv20rocsparse_operation_S1_16rocsparse_order_S2_T3_S3_S3_T2_NS_24const_host_device_scalarIT1_EEPKT4_lPKT5_lS7_PT6_PKS3_21rocsparse_index_base_b.has_dyn_sized_stack, 0
	.set _ZN9rocsparseL16sddmm_ell_kernelILi512ELi8EfllfffEEv20rocsparse_operation_S1_16rocsparse_order_S2_T3_S3_S3_T2_NS_24const_host_device_scalarIT1_EEPKT4_lPKT5_lS7_PT6_PKS3_21rocsparse_index_base_b.has_recursion, 0
	.set _ZN9rocsparseL16sddmm_ell_kernelILi512ELi8EfllfffEEv20rocsparse_operation_S1_16rocsparse_order_S2_T3_S3_S3_T2_NS_24const_host_device_scalarIT1_EEPKT4_lPKT5_lS7_PT6_PKS3_21rocsparse_index_base_b.has_indirect_call, 0
	.section	.AMDGPU.csdata,"",@progbits
; Kernel info:
; codeLenInByte = 1796
; TotalNumSgprs: 30
; NumVgprs: 15
; ScratchSize: 0
; MemoryBound: 0
; FloatMode: 240
; IeeeMode: 1
; LDSByteSize: 2048 bytes/workgroup (compile time only)
; SGPRBlocks: 3
; VGPRBlocks: 3
; NumSGPRsForWavesPerEU: 30
; NumVGPRsForWavesPerEU: 15
; Occupancy: 10
; WaveLimiterHint : 0
; COMPUTE_PGM_RSRC2:SCRATCH_EN: 0
; COMPUTE_PGM_RSRC2:USER_SGPR: 6
; COMPUTE_PGM_RSRC2:TRAP_HANDLER: 0
; COMPUTE_PGM_RSRC2:TGID_X_EN: 1
; COMPUTE_PGM_RSRC2:TGID_Y_EN: 0
; COMPUTE_PGM_RSRC2:TGID_Z_EN: 0
; COMPUTE_PGM_RSRC2:TIDIG_COMP_CNT: 0
	.section	.text._ZN9rocsparseL16sddmm_ell_kernelILi512ELi4EfllfffEEv20rocsparse_operation_S1_16rocsparse_order_S2_T3_S3_S3_T2_NS_24const_host_device_scalarIT1_EEPKT4_lPKT5_lS7_PT6_PKS3_21rocsparse_index_base_b,"axG",@progbits,_ZN9rocsparseL16sddmm_ell_kernelILi512ELi4EfllfffEEv20rocsparse_operation_S1_16rocsparse_order_S2_T3_S3_S3_T2_NS_24const_host_device_scalarIT1_EEPKT4_lPKT5_lS7_PT6_PKS3_21rocsparse_index_base_b,comdat
	.globl	_ZN9rocsparseL16sddmm_ell_kernelILi512ELi4EfllfffEEv20rocsparse_operation_S1_16rocsparse_order_S2_T3_S3_S3_T2_NS_24const_host_device_scalarIT1_EEPKT4_lPKT5_lS7_PT6_PKS3_21rocsparse_index_base_b ; -- Begin function _ZN9rocsparseL16sddmm_ell_kernelILi512ELi4EfllfffEEv20rocsparse_operation_S1_16rocsparse_order_S2_T3_S3_S3_T2_NS_24const_host_device_scalarIT1_EEPKT4_lPKT5_lS7_PT6_PKS3_21rocsparse_index_base_b
	.p2align	8
	.type	_ZN9rocsparseL16sddmm_ell_kernelILi512ELi4EfllfffEEv20rocsparse_operation_S1_16rocsparse_order_S2_T3_S3_S3_T2_NS_24const_host_device_scalarIT1_EEPKT4_lPKT5_lS7_PT6_PKS3_21rocsparse_index_base_b,@function
_ZN9rocsparseL16sddmm_ell_kernelILi512ELi4EfllfffEEv20rocsparse_operation_S1_16rocsparse_order_S2_T3_S3_S3_T2_NS_24const_host_device_scalarIT1_EEPKT4_lPKT5_lS7_PT6_PKS3_21rocsparse_index_base_b: ; @_ZN9rocsparseL16sddmm_ell_kernelILi512ELi4EfllfffEEv20rocsparse_operation_S1_16rocsparse_order_S2_T3_S3_S3_T2_NS_24const_host_device_scalarIT1_EEPKT4_lPKT5_lS7_PT6_PKS3_21rocsparse_index_base_b
; %bb.0:
	s_load_dwordx2 s[18:19], s[4:5], 0x70
	s_load_dwordx2 s[16:17], s[4:5], 0x30
	s_load_dwordx4 s[8:11], s[4:5], 0x50
	s_waitcnt lgkmcnt(0)
	s_bitcmp1_b32 s19, 0
	s_cselect_b64 s[2:3], -1, 0
	s_xor_b64 s[0:1], s[2:3], -1
	s_and_b64 vcc, exec, s[2:3]
	s_cbranch_vccnz .LBB39_2
; %bb.1:
	s_load_dword s16, s[16:17], 0x0
.LBB39_2:
	s_andn2_b64 vcc, exec, s[0:1]
	s_cbranch_vccnz .LBB39_4
; %bb.3:
	s_load_dword s10, s[10:11], 0x0
.LBB39_4:
	s_waitcnt lgkmcnt(0)
	v_cmp_eq_f32_e64 s[0:1], s16, 0
	v_cmp_eq_f32_e64 s[2:3], s10, 1.0
	s_and_b64 s[0:1], s[0:1], s[2:3]
	s_and_b64 vcc, exec, s[0:1]
	s_cbranch_vccnz .LBB39_37
; %bb.5:
	s_load_dwordx4 s[12:15], s[4:5], 0x20
	v_lshrrev_b32_e32 v11, 2, v0
	v_lshl_or_b32 v1, s6, 7, v11
	v_mov_b32_e32 v2, 0
	s_waitcnt lgkmcnt(0)
	v_cmp_gt_i64_e32 vcc, s[14:15], v[1:2]
	s_and_saveexec_b64 s[0:1], vcc
	s_cbranch_execz .LBB39_37
; %bb.6:
	s_load_dwordx2 s[14:15], s[4:5], 0x10
	s_load_dwordx2 s[6:7], s[4:5], 0x68
	s_mov_b32 s0, 0
                                        ; implicit-def: $vgpr7_vgpr8
	s_waitcnt lgkmcnt(0)
	s_mov_b32 s1, s15
	s_cmp_lg_u64 s[0:1], 0
	s_cselect_b64 s[0:1], -1, 0
	s_and_saveexec_b64 s[2:3], s[0:1]
	s_xor_b64 s[20:21], exec, s[2:3]
	s_cbranch_execz .LBB39_8
; %bb.7:
	s_ashr_i32 s0, s15, 31
	s_add_u32 s2, s14, s0
	s_mov_b32 s1, s0
	s_addc_u32 s3, s15, s0
	s_xor_b64 s[22:23], s[2:3], s[0:1]
	v_cvt_f32_u32_e32 v3, s22
	v_cvt_f32_u32_e32 v4, s23
	s_sub_u32 s2, 0, s22
	s_subb_u32 s3, 0, s23
	v_add_co_u32_e32 v7, vcc, 0, v1
	v_madmk_f32 v3, v4, 0x4f800000, v3
	v_rcp_f32_e32 v3, v3
	v_mul_f32_e32 v3, 0x5f7ffffc, v3
	v_mul_f32_e32 v4, 0x2f800000, v3
	v_trunc_f32_e32 v4, v4
	v_madmk_f32 v3, v4, 0xcf800000, v3
	v_cvt_u32_f32_e32 v4, v4
	v_cvt_u32_f32_e32 v3, v3
	v_readfirstlane_b32 s11, v4
	v_readfirstlane_b32 s0, v3
	s_mul_i32 s1, s2, s11
	s_mul_hi_u32 s17, s2, s0
	s_mul_i32 s15, s3, s0
	s_add_i32 s1, s17, s1
	s_add_i32 s1, s1, s15
	s_mul_i32 s19, s2, s0
	s_mul_i32 s17, s0, s1
	s_mul_hi_u32 s24, s0, s19
	s_mul_hi_u32 s15, s0, s1
	s_add_u32 s17, s24, s17
	s_addc_u32 s15, 0, s15
	s_mul_hi_u32 s25, s11, s19
	s_mul_i32 s19, s11, s19
	s_add_u32 s17, s17, s19
	s_mul_hi_u32 s24, s11, s1
	s_addc_u32 s15, s15, s25
	s_addc_u32 s17, s24, 0
	s_mul_i32 s1, s11, s1
	s_add_u32 s1, s15, s1
	s_addc_u32 s15, 0, s17
	s_add_u32 s17, s0, s1
	s_cselect_b64 s[0:1], -1, 0
	s_cmp_lg_u64 s[0:1], 0
	s_addc_u32 s11, s11, s15
	s_mul_i32 s0, s2, s11
	s_mul_hi_u32 s1, s2, s17
	s_add_i32 s0, s1, s0
	s_mul_i32 s3, s3, s17
	s_add_i32 s0, s0, s3
	s_mul_i32 s2, s2, s17
	s_mul_hi_u32 s3, s11, s2
	s_mul_i32 s15, s11, s2
	s_mul_i32 s24, s17, s0
	s_mul_hi_u32 s2, s17, s2
	s_mul_hi_u32 s19, s17, s0
	s_add_u32 s2, s2, s24
	s_addc_u32 s19, 0, s19
	s_add_u32 s2, s2, s15
	s_mul_hi_u32 s1, s11, s0
	s_addc_u32 s2, s19, s3
	s_addc_u32 s1, s1, 0
	s_mul_i32 s0, s11, s0
	s_add_u32 s0, s2, s0
	s_addc_u32 s2, 0, s1
	s_add_u32 s3, s17, s0
	s_cselect_b64 s[0:1], -1, 0
	s_cmp_lg_u64 s[0:1], 0
	s_addc_u32 s2, s11, s2
	v_mad_u64_u32 v[3:4], s[0:1], v7, s2, 0
	v_mul_hi_u32 v5, v7, s3
	v_addc_co_u32_e64 v8, s[0:1], 0, 0, vcc
	v_add_co_u32_e32 v9, vcc, v5, v3
	v_addc_co_u32_e32 v10, vcc, 0, v4, vcc
	v_mad_u64_u32 v[3:4], s[0:1], v8, s3, 0
	v_mad_u64_u32 v[5:6], s[0:1], v8, s2, 0
	v_add_co_u32_e32 v3, vcc, v9, v3
	v_addc_co_u32_e32 v3, vcc, v10, v4, vcc
	v_addc_co_u32_e32 v4, vcc, 0, v6, vcc
	v_add_co_u32_e32 v3, vcc, v3, v5
	v_addc_co_u32_e32 v4, vcc, 0, v4, vcc
	v_mul_lo_u32 v5, s23, v3
	v_mul_lo_u32 v6, s22, v4
	v_mad_u64_u32 v[3:4], s[0:1], s22, v3, 0
	v_add3_u32 v4, v4, v6, v5
	v_sub_u32_e32 v5, v8, v4
	v_mov_b32_e32 v6, s23
	v_sub_co_u32_e32 v3, vcc, v7, v3
	v_subb_co_u32_e64 v5, s[0:1], v5, v6, vcc
	v_subrev_co_u32_e64 v7, s[0:1], s22, v3
	v_subbrev_co_u32_e64 v9, s[2:3], 0, v5, s[0:1]
	v_cmp_le_u32_e64 s[2:3], s23, v9
	v_cndmask_b32_e64 v10, 0, -1, s[2:3]
	v_cmp_le_u32_e64 s[2:3], s22, v7
	v_subb_co_u32_e64 v5, s[0:1], v5, v6, s[0:1]
	v_cndmask_b32_e64 v12, 0, -1, s[2:3]
	v_cmp_eq_u32_e64 s[2:3], s23, v9
	v_subrev_co_u32_e64 v6, s[0:1], s22, v7
	v_subb_co_u32_e32 v4, vcc, v8, v4, vcc
	v_cndmask_b32_e64 v10, v10, v12, s[2:3]
	v_subbrev_co_u32_e64 v5, s[0:1], 0, v5, s[0:1]
	v_cmp_le_u32_e32 vcc, s23, v4
	v_cmp_ne_u32_e64 s[0:1], 0, v10
	v_cndmask_b32_e64 v8, 0, -1, vcc
	v_cmp_le_u32_e32 vcc, s22, v3
	v_cndmask_b32_e64 v5, v9, v5, s[0:1]
	v_cndmask_b32_e64 v9, 0, -1, vcc
	v_cmp_eq_u32_e32 vcc, s23, v4
	v_cndmask_b32_e32 v8, v8, v9, vcc
	v_cmp_ne_u32_e32 vcc, 0, v8
	v_cndmask_b32_e32 v4, v4, v5, vcc
	v_cndmask_b32_e64 v5, v7, v6, s[0:1]
	v_cndmask_b32_e32 v3, v3, v5, vcc
	v_subrev_co_u32_e32 v7, vcc, 0, v3
	v_subbrev_co_u32_e32 v8, vcc, 0, v4, vcc
.LBB39_8:
	s_andn2_saveexec_b64 s[0:1], s[20:21]
	s_cbranch_execz .LBB39_10
; %bb.9:
	v_cvt_f32_u32_e32 v3, s14
	s_sub_i32 s2, 0, s14
	v_mov_b32_e32 v8, 0
	v_rcp_iflag_f32_e32 v3, v3
	v_mul_f32_e32 v3, 0x4f7ffffe, v3
	v_cvt_u32_f32_e32 v3, v3
	v_mul_lo_u32 v4, s2, v3
	v_mul_hi_u32 v4, v3, v4
	v_add_u32_e32 v3, v3, v4
	v_mul_hi_u32 v3, v1, v3
	v_mul_lo_u32 v3, v3, s14
	v_sub_u32_e32 v3, v1, v3
	v_subrev_u32_e32 v4, s14, v3
	v_cmp_le_u32_e32 vcc, s14, v3
	v_cndmask_b32_e32 v3, v3, v4, vcc
	v_subrev_u32_e32 v4, s14, v3
	v_cmp_le_u32_e32 vcc, s14, v3
	v_cndmask_b32_e32 v7, v3, v4, vcc
.LBB39_10:
	s_or_b64 exec, exec, s[0:1]
	v_lshlrev_b64 v[3:4], 3, v[1:2]
	v_mov_b32_e32 v5, s7
	v_add_co_u32_e32 v3, vcc, s6, v3
	v_addc_co_u32_e32 v4, vcc, v5, v4, vcc
	global_load_dwordx2 v[3:4], v[3:4], off
	s_mov_b64 s[22:23], -1
	s_waitcnt vmcnt(0)
	v_subrev_co_u32_e32 v5, vcc, s18, v3
	v_subbrev_co_u32_e32 v6, vcc, 0, v4, vcc
	v_cmp_lt_i64_e32 vcc, -1, v[5:6]
	s_and_b64 exec, exec, vcc
	s_cbranch_execz .LBB39_37
; %bb.11:
	s_load_dwordx4 s[0:3], s[4:5], 0x0
	s_load_dwordx2 s[6:7], s[4:5], 0x40
                                        ; implicit-def: $vgpr3_vgpr4
	s_waitcnt lgkmcnt(0)
	s_cmp_eq_u32 s2, 1
	s_cselect_b64 s[14:15], -1, 0
	s_cmpk_eq_i32 s0, 0x6f
	s_cselect_b64 s[18:19], -1, 0
	s_cmpk_lg_i32 s0, 0x6f
	s_cselect_b64 s[20:21], -1, 0
	s_cmp_lg_u32 s2, 1
	s_cbranch_scc0 .LBB39_15
; %bb.12:
	v_mov_b32_e32 v3, v7
	s_andn2_b64 vcc, exec, s[18:19]
	v_mov_b32_e32 v4, v8
	s_cbranch_vccnz .LBB39_14
; %bb.13:
	v_mul_lo_u32 v9, v8, s6
	v_mul_lo_u32 v10, v7, s7
	v_mad_u64_u32 v[3:4], s[22:23], v7, s6, 0
	v_add3_u32 v4, v4, v10, v9
.LBB39_14:
	s_mov_b64 s[22:23], 0
.LBB39_15:
	s_andn2_b64 vcc, exec, s[22:23]
	s_cbranch_vccnz .LBB39_19
; %bb.16:
	s_andn2_b64 vcc, exec, s[20:21]
	s_cbranch_vccnz .LBB39_18
; %bb.17:
	v_mul_lo_u32 v3, v8, s6
	v_mul_lo_u32 v4, v7, s7
	v_mad_u64_u32 v[7:8], s[20:21], v7, s6, 0
	v_add3_u32 v8, v8, v4, v3
.LBB39_18:
	v_mov_b32_e32 v3, v7
	v_mov_b32_e32 v4, v8
.LBB39_19:
	s_cmp_eq_u32 s3, 1
	s_cselect_b64 s[22:23], -1, 0
	s_cmpk_eq_i32 s1, 0x6f
	s_cselect_b64 s[24:25], -1, 0
	s_cmpk_lg_i32 s1, 0x6f
	s_cselect_b64 s[0:1], -1, 0
	s_cmp_lg_u32 s3, 1
	s_cbranch_scc0 .LBB39_23
; %bb.20:
	v_mov_b32_e32 v8, v6
	s_andn2_b64 vcc, exec, s[0:1]
	v_mov_b32_e32 v7, v5
	s_cbranch_vccnz .LBB39_22
; %bb.21:
	v_mul_lo_u32 v9, v6, s8
	v_mul_lo_u32 v10, v5, s9
	v_mad_u64_u32 v[7:8], s[0:1], v5, s8, 0
	v_add3_u32 v8, v8, v10, v9
.LBB39_22:
	s_cbranch_execz .LBB39_24
	s_branch .LBB39_27
.LBB39_23:
                                        ; implicit-def: $vgpr7_vgpr8
.LBB39_24:
	s_andn2_b64 vcc, exec, s[24:25]
	s_cbranch_vccnz .LBB39_26
; %bb.25:
	v_mul_lo_u32 v7, v6, s8
	v_mul_lo_u32 v8, v5, s9
	v_mad_u64_u32 v[5:6], s[0:1], v5, s8, 0
	v_add3_u32 v6, v6, v8, v7
.LBB39_26:
	v_mov_b32_e32 v8, v6
	v_mov_b32_e32 v7, v5
.LBB39_27:
	s_load_dwordx2 s[2:3], s[4:5], 0x60
	v_and_b32_e32 v5, 3, v0
	v_mov_b32_e32 v6, 0
	v_cmp_gt_i64_e32 vcc, s[12:13], v[5:6]
	s_and_saveexec_b64 s[20:21], vcc
	s_cbranch_execz .LBB39_31
; %bb.28:
	s_xor_b64 s[0:1], s[18:19], s[14:15]
	s_and_b64 s[0:1], s[0:1], exec
	s_cselect_b32 s1, 0, s7
	s_cselect_b32 s0, 1, s6
	s_xor_b64 s[6:7], s[24:25], s[22:23]
	s_and_b64 s[6:7], s[6:7], exec
	s_cselect_b32 s6, s8, 1
	v_mad_u64_u32 v[9:10], s[14:15], s6, v5, 0
	s_cselect_b32 s7, s9, 0
	v_lshlrev_b64 v[7:8], 2, v[7:8]
	v_mov_b32_e32 v0, v10
	v_mad_u64_u32 v[12:13], s[8:9], s7, v5, v[0:1]
	s_load_dwordx2 s[8:9], s[4:5], 0x38
	s_load_dwordx2 s[14:15], s[4:5], 0x48
	v_lshlrev_b64 v[3:4], 2, v[3:4]
	v_mov_b32_e32 v10, v12
	v_mad_u64_u32 v[12:13], s[4:5], s0, v5, 0
	v_lshlrev_b64 v[9:10], 2, v[9:10]
	s_waitcnt lgkmcnt(0)
	v_mov_b32_e32 v14, s15
	v_add_co_u32_e32 v7, vcc, v9, v7
	v_mov_b32_e32 v0, v13
	v_addc_co_u32_e32 v8, vcc, v10, v8, vcc
	v_mad_u64_u32 v[9:10], s[4:5], s1, v5, v[0:1]
	v_add_co_u32_e32 v7, vcc, s14, v7
	v_mov_b32_e32 v13, v9
	v_lshlrev_b64 v[9:10], 2, v[12:13]
	v_addc_co_u32_e32 v8, vcc, v14, v8, vcc
	v_add_co_u32_e32 v0, vcc, v9, v3
	v_addc_co_u32_e32 v4, vcc, v10, v4, vcc
	v_mov_b32_e32 v9, s9
	v_add_co_u32_e32 v3, vcc, s8, v0
	v_addc_co_u32_e32 v4, vcc, v9, v4, vcc
	v_mov_b32_e32 v0, 0
	v_mov_b32_e32 v10, v6
	s_lshl_b64 s[4:5], s[6:7], 4
	s_lshl_b64 s[6:7], s[0:1], 4
	s_mov_b64 s[8:9], 0
	v_mov_b32_e32 v9, v5
	v_mov_b32_e32 v6, v0
.LBB39_29:                              ; =>This Inner Loop Header: Depth=1
	global_load_dword v0, v[3:4], off
	global_load_dword v12, v[7:8], off
	v_add_co_u32_e32 v9, vcc, 4, v9
	v_mov_b32_e32 v13, s5
	v_add_co_u32_e64 v7, s[0:1], s4, v7
	v_addc_co_u32_e32 v10, vcc, 0, v10, vcc
	v_addc_co_u32_e64 v8, s[0:1], v8, v13, s[0:1]
	v_cmp_le_i64_e64 s[0:1], s[12:13], v[9:10]
	v_mov_b32_e32 v14, s7
	v_add_co_u32_e32 v3, vcc, s6, v3
	v_addc_co_u32_e32 v4, vcc, v4, v14, vcc
	s_or_b64 s[8:9], s[0:1], s[8:9]
	s_waitcnt vmcnt(0)
	v_fmac_f32_e32 v6, v0, v12
	s_andn2_b64 exec, exec, s[8:9]
	s_cbranch_execnz .LBB39_29
; %bb.30:
	s_or_b64 exec, exec, s[8:9]
.LBB39_31:
	s_or_b64 exec, exec, s[20:21]
	v_lshlrev_b32_e32 v0, 4, v11
	v_lshl_or_b32 v3, v5, 2, v0
	v_cmp_gt_u32_e32 vcc, 2, v5
	ds_write_b32 v3, v6
	s_waitcnt lgkmcnt(0)
	s_barrier
	s_and_saveexec_b64 s[0:1], vcc
	s_cbranch_execz .LBB39_33
; %bb.32:
	ds_read2_b32 v[6:7], v3 offset1:2
	s_waitcnt lgkmcnt(0)
	v_add_f32_e32 v4, v7, v6
	ds_write_b32 v3, v4
.LBB39_33:
	s_or_b64 exec, exec, s[0:1]
	v_cmp_eq_u32_e32 vcc, 0, v5
	s_waitcnt lgkmcnt(0)
	s_barrier
	s_and_saveexec_b64 s[0:1], vcc
	s_cbranch_execz .LBB39_35
; %bb.34:
	ds_read2_b32 v[4:5], v3 offset1:1
	s_waitcnt lgkmcnt(0)
	v_add_f32_e32 v4, v5, v4
	ds_write_b32 v3, v4
.LBB39_35:
	s_or_b64 exec, exec, s[0:1]
	s_waitcnt lgkmcnt(0)
	s_barrier
	s_and_b64 exec, exec, vcc
	s_cbranch_execz .LBB39_37
; %bb.36:
	v_lshlrev_b64 v[1:2], 2, v[1:2]
	v_mov_b32_e32 v3, s3
	v_add_co_u32_e32 v1, vcc, s2, v1
	v_addc_co_u32_e32 v2, vcc, v3, v2, vcc
	global_load_dword v3, v[1:2], off
	ds_read_b32 v0, v0
	s_waitcnt lgkmcnt(0)
	v_mul_f32_e32 v0, s16, v0
	s_waitcnt vmcnt(0)
	v_fmac_f32_e32 v0, s10, v3
	global_store_dword v[1:2], v0, off
.LBB39_37:
	s_endpgm
	.section	.rodata,"a",@progbits
	.p2align	6, 0x0
	.amdhsa_kernel _ZN9rocsparseL16sddmm_ell_kernelILi512ELi4EfllfffEEv20rocsparse_operation_S1_16rocsparse_order_S2_T3_S3_S3_T2_NS_24const_host_device_scalarIT1_EEPKT4_lPKT5_lS7_PT6_PKS3_21rocsparse_index_base_b
		.amdhsa_group_segment_fixed_size 2048
		.amdhsa_private_segment_fixed_size 0
		.amdhsa_kernarg_size 120
		.amdhsa_user_sgpr_count 6
		.amdhsa_user_sgpr_private_segment_buffer 1
		.amdhsa_user_sgpr_dispatch_ptr 0
		.amdhsa_user_sgpr_queue_ptr 0
		.amdhsa_user_sgpr_kernarg_segment_ptr 1
		.amdhsa_user_sgpr_dispatch_id 0
		.amdhsa_user_sgpr_flat_scratch_init 0
		.amdhsa_user_sgpr_private_segment_size 0
		.amdhsa_uses_dynamic_stack 0
		.amdhsa_system_sgpr_private_segment_wavefront_offset 0
		.amdhsa_system_sgpr_workgroup_id_x 1
		.amdhsa_system_sgpr_workgroup_id_y 0
		.amdhsa_system_sgpr_workgroup_id_z 0
		.amdhsa_system_sgpr_workgroup_info 0
		.amdhsa_system_vgpr_workitem_id 0
		.amdhsa_next_free_vgpr 15
		.amdhsa_next_free_sgpr 26
		.amdhsa_reserve_vcc 1
		.amdhsa_reserve_flat_scratch 0
		.amdhsa_float_round_mode_32 0
		.amdhsa_float_round_mode_16_64 0
		.amdhsa_float_denorm_mode_32 3
		.amdhsa_float_denorm_mode_16_64 3
		.amdhsa_dx10_clamp 1
		.amdhsa_ieee_mode 1
		.amdhsa_fp16_overflow 0
		.amdhsa_exception_fp_ieee_invalid_op 0
		.amdhsa_exception_fp_denorm_src 0
		.amdhsa_exception_fp_ieee_div_zero 0
		.amdhsa_exception_fp_ieee_overflow 0
		.amdhsa_exception_fp_ieee_underflow 0
		.amdhsa_exception_fp_ieee_inexact 0
		.amdhsa_exception_int_div_zero 0
	.end_amdhsa_kernel
	.section	.text._ZN9rocsparseL16sddmm_ell_kernelILi512ELi4EfllfffEEv20rocsparse_operation_S1_16rocsparse_order_S2_T3_S3_S3_T2_NS_24const_host_device_scalarIT1_EEPKT4_lPKT5_lS7_PT6_PKS3_21rocsparse_index_base_b,"axG",@progbits,_ZN9rocsparseL16sddmm_ell_kernelILi512ELi4EfllfffEEv20rocsparse_operation_S1_16rocsparse_order_S2_T3_S3_S3_T2_NS_24const_host_device_scalarIT1_EEPKT4_lPKT5_lS7_PT6_PKS3_21rocsparse_index_base_b,comdat
.Lfunc_end39:
	.size	_ZN9rocsparseL16sddmm_ell_kernelILi512ELi4EfllfffEEv20rocsparse_operation_S1_16rocsparse_order_S2_T3_S3_S3_T2_NS_24const_host_device_scalarIT1_EEPKT4_lPKT5_lS7_PT6_PKS3_21rocsparse_index_base_b, .Lfunc_end39-_ZN9rocsparseL16sddmm_ell_kernelILi512ELi4EfllfffEEv20rocsparse_operation_S1_16rocsparse_order_S2_T3_S3_S3_T2_NS_24const_host_device_scalarIT1_EEPKT4_lPKT5_lS7_PT6_PKS3_21rocsparse_index_base_b
                                        ; -- End function
	.set _ZN9rocsparseL16sddmm_ell_kernelILi512ELi4EfllfffEEv20rocsparse_operation_S1_16rocsparse_order_S2_T3_S3_S3_T2_NS_24const_host_device_scalarIT1_EEPKT4_lPKT5_lS7_PT6_PKS3_21rocsparse_index_base_b.num_vgpr, 15
	.set _ZN9rocsparseL16sddmm_ell_kernelILi512ELi4EfllfffEEv20rocsparse_operation_S1_16rocsparse_order_S2_T3_S3_S3_T2_NS_24const_host_device_scalarIT1_EEPKT4_lPKT5_lS7_PT6_PKS3_21rocsparse_index_base_b.num_agpr, 0
	.set _ZN9rocsparseL16sddmm_ell_kernelILi512ELi4EfllfffEEv20rocsparse_operation_S1_16rocsparse_order_S2_T3_S3_S3_T2_NS_24const_host_device_scalarIT1_EEPKT4_lPKT5_lS7_PT6_PKS3_21rocsparse_index_base_b.numbered_sgpr, 26
	.set _ZN9rocsparseL16sddmm_ell_kernelILi512ELi4EfllfffEEv20rocsparse_operation_S1_16rocsparse_order_S2_T3_S3_S3_T2_NS_24const_host_device_scalarIT1_EEPKT4_lPKT5_lS7_PT6_PKS3_21rocsparse_index_base_b.num_named_barrier, 0
	.set _ZN9rocsparseL16sddmm_ell_kernelILi512ELi4EfllfffEEv20rocsparse_operation_S1_16rocsparse_order_S2_T3_S3_S3_T2_NS_24const_host_device_scalarIT1_EEPKT4_lPKT5_lS7_PT6_PKS3_21rocsparse_index_base_b.private_seg_size, 0
	.set _ZN9rocsparseL16sddmm_ell_kernelILi512ELi4EfllfffEEv20rocsparse_operation_S1_16rocsparse_order_S2_T3_S3_S3_T2_NS_24const_host_device_scalarIT1_EEPKT4_lPKT5_lS7_PT6_PKS3_21rocsparse_index_base_b.uses_vcc, 1
	.set _ZN9rocsparseL16sddmm_ell_kernelILi512ELi4EfllfffEEv20rocsparse_operation_S1_16rocsparse_order_S2_T3_S3_S3_T2_NS_24const_host_device_scalarIT1_EEPKT4_lPKT5_lS7_PT6_PKS3_21rocsparse_index_base_b.uses_flat_scratch, 0
	.set _ZN9rocsparseL16sddmm_ell_kernelILi512ELi4EfllfffEEv20rocsparse_operation_S1_16rocsparse_order_S2_T3_S3_S3_T2_NS_24const_host_device_scalarIT1_EEPKT4_lPKT5_lS7_PT6_PKS3_21rocsparse_index_base_b.has_dyn_sized_stack, 0
	.set _ZN9rocsparseL16sddmm_ell_kernelILi512ELi4EfllfffEEv20rocsparse_operation_S1_16rocsparse_order_S2_T3_S3_S3_T2_NS_24const_host_device_scalarIT1_EEPKT4_lPKT5_lS7_PT6_PKS3_21rocsparse_index_base_b.has_recursion, 0
	.set _ZN9rocsparseL16sddmm_ell_kernelILi512ELi4EfllfffEEv20rocsparse_operation_S1_16rocsparse_order_S2_T3_S3_S3_T2_NS_24const_host_device_scalarIT1_EEPKT4_lPKT5_lS7_PT6_PKS3_21rocsparse_index_base_b.has_indirect_call, 0
	.section	.AMDGPU.csdata,"",@progbits
; Kernel info:
; codeLenInByte = 1748
; TotalNumSgprs: 30
; NumVgprs: 15
; ScratchSize: 0
; MemoryBound: 0
; FloatMode: 240
; IeeeMode: 1
; LDSByteSize: 2048 bytes/workgroup (compile time only)
; SGPRBlocks: 3
; VGPRBlocks: 3
; NumSGPRsForWavesPerEU: 30
; NumVGPRsForWavesPerEU: 15
; Occupancy: 10
; WaveLimiterHint : 0
; COMPUTE_PGM_RSRC2:SCRATCH_EN: 0
; COMPUTE_PGM_RSRC2:USER_SGPR: 6
; COMPUTE_PGM_RSRC2:TRAP_HANDLER: 0
; COMPUTE_PGM_RSRC2:TGID_X_EN: 1
; COMPUTE_PGM_RSRC2:TGID_Y_EN: 0
; COMPUTE_PGM_RSRC2:TGID_Z_EN: 0
; COMPUTE_PGM_RSRC2:TIDIG_COMP_CNT: 0
	.section	.text._ZN9rocsparseL16sddmm_ell_kernelILi512ELi2EfllfffEEv20rocsparse_operation_S1_16rocsparse_order_S2_T3_S3_S3_T2_NS_24const_host_device_scalarIT1_EEPKT4_lPKT5_lS7_PT6_PKS3_21rocsparse_index_base_b,"axG",@progbits,_ZN9rocsparseL16sddmm_ell_kernelILi512ELi2EfllfffEEv20rocsparse_operation_S1_16rocsparse_order_S2_T3_S3_S3_T2_NS_24const_host_device_scalarIT1_EEPKT4_lPKT5_lS7_PT6_PKS3_21rocsparse_index_base_b,comdat
	.globl	_ZN9rocsparseL16sddmm_ell_kernelILi512ELi2EfllfffEEv20rocsparse_operation_S1_16rocsparse_order_S2_T3_S3_S3_T2_NS_24const_host_device_scalarIT1_EEPKT4_lPKT5_lS7_PT6_PKS3_21rocsparse_index_base_b ; -- Begin function _ZN9rocsparseL16sddmm_ell_kernelILi512ELi2EfllfffEEv20rocsparse_operation_S1_16rocsparse_order_S2_T3_S3_S3_T2_NS_24const_host_device_scalarIT1_EEPKT4_lPKT5_lS7_PT6_PKS3_21rocsparse_index_base_b
	.p2align	8
	.type	_ZN9rocsparseL16sddmm_ell_kernelILi512ELi2EfllfffEEv20rocsparse_operation_S1_16rocsparse_order_S2_T3_S3_S3_T2_NS_24const_host_device_scalarIT1_EEPKT4_lPKT5_lS7_PT6_PKS3_21rocsparse_index_base_b,@function
_ZN9rocsparseL16sddmm_ell_kernelILi512ELi2EfllfffEEv20rocsparse_operation_S1_16rocsparse_order_S2_T3_S3_S3_T2_NS_24const_host_device_scalarIT1_EEPKT4_lPKT5_lS7_PT6_PKS3_21rocsparse_index_base_b: ; @_ZN9rocsparseL16sddmm_ell_kernelILi512ELi2EfllfffEEv20rocsparse_operation_S1_16rocsparse_order_S2_T3_S3_S3_T2_NS_24const_host_device_scalarIT1_EEPKT4_lPKT5_lS7_PT6_PKS3_21rocsparse_index_base_b
; %bb.0:
	s_load_dwordx2 s[18:19], s[4:5], 0x70
	s_load_dwordx2 s[16:17], s[4:5], 0x30
	s_load_dwordx4 s[8:11], s[4:5], 0x50
	s_waitcnt lgkmcnt(0)
	s_bitcmp1_b32 s19, 0
	s_cselect_b64 s[2:3], -1, 0
	s_xor_b64 s[0:1], s[2:3], -1
	s_and_b64 vcc, exec, s[2:3]
	s_cbranch_vccnz .LBB40_2
; %bb.1:
	s_load_dword s16, s[16:17], 0x0
.LBB40_2:
	s_andn2_b64 vcc, exec, s[0:1]
	s_cbranch_vccnz .LBB40_4
; %bb.3:
	s_load_dword s10, s[10:11], 0x0
.LBB40_4:
	s_waitcnt lgkmcnt(0)
	v_cmp_eq_f32_e64 s[0:1], s16, 0
	v_cmp_eq_f32_e64 s[2:3], s10, 1.0
	s_and_b64 s[0:1], s[0:1], s[2:3]
	s_and_b64 vcc, exec, s[0:1]
	s_cbranch_vccnz .LBB40_35
; %bb.5:
	s_load_dwordx4 s[12:15], s[4:5], 0x20
	v_lshrrev_b32_e32 v11, 1, v0
	v_lshl_or_b32 v1, s6, 8, v11
	v_mov_b32_e32 v2, 0
	s_waitcnt lgkmcnt(0)
	v_cmp_gt_i64_e32 vcc, s[14:15], v[1:2]
	s_and_saveexec_b64 s[0:1], vcc
	s_cbranch_execz .LBB40_35
; %bb.6:
	s_load_dwordx2 s[14:15], s[4:5], 0x10
	s_load_dwordx2 s[6:7], s[4:5], 0x68
	s_mov_b32 s0, 0
                                        ; implicit-def: $vgpr7_vgpr8
	s_waitcnt lgkmcnt(0)
	s_mov_b32 s1, s15
	s_cmp_lg_u64 s[0:1], 0
	s_cselect_b64 s[0:1], -1, 0
	s_and_saveexec_b64 s[2:3], s[0:1]
	s_xor_b64 s[20:21], exec, s[2:3]
	s_cbranch_execz .LBB40_8
; %bb.7:
	s_ashr_i32 s0, s15, 31
	s_add_u32 s2, s14, s0
	s_mov_b32 s1, s0
	s_addc_u32 s3, s15, s0
	s_xor_b64 s[22:23], s[2:3], s[0:1]
	v_cvt_f32_u32_e32 v3, s22
	v_cvt_f32_u32_e32 v4, s23
	s_sub_u32 s2, 0, s22
	s_subb_u32 s3, 0, s23
	v_add_co_u32_e32 v7, vcc, 0, v1
	v_madmk_f32 v3, v4, 0x4f800000, v3
	v_rcp_f32_e32 v3, v3
	v_mul_f32_e32 v3, 0x5f7ffffc, v3
	v_mul_f32_e32 v4, 0x2f800000, v3
	v_trunc_f32_e32 v4, v4
	v_madmk_f32 v3, v4, 0xcf800000, v3
	v_cvt_u32_f32_e32 v4, v4
	v_cvt_u32_f32_e32 v3, v3
	v_readfirstlane_b32 s11, v4
	v_readfirstlane_b32 s0, v3
	s_mul_i32 s1, s2, s11
	s_mul_hi_u32 s17, s2, s0
	s_mul_i32 s15, s3, s0
	s_add_i32 s1, s17, s1
	s_add_i32 s1, s1, s15
	s_mul_i32 s19, s2, s0
	s_mul_i32 s17, s0, s1
	s_mul_hi_u32 s24, s0, s19
	s_mul_hi_u32 s15, s0, s1
	s_add_u32 s17, s24, s17
	s_addc_u32 s15, 0, s15
	s_mul_hi_u32 s25, s11, s19
	s_mul_i32 s19, s11, s19
	s_add_u32 s17, s17, s19
	s_mul_hi_u32 s24, s11, s1
	s_addc_u32 s15, s15, s25
	s_addc_u32 s17, s24, 0
	s_mul_i32 s1, s11, s1
	s_add_u32 s1, s15, s1
	s_addc_u32 s15, 0, s17
	s_add_u32 s17, s0, s1
	s_cselect_b64 s[0:1], -1, 0
	s_cmp_lg_u64 s[0:1], 0
	s_addc_u32 s11, s11, s15
	s_mul_i32 s0, s2, s11
	s_mul_hi_u32 s1, s2, s17
	s_add_i32 s0, s1, s0
	s_mul_i32 s3, s3, s17
	s_add_i32 s0, s0, s3
	s_mul_i32 s2, s2, s17
	s_mul_hi_u32 s3, s11, s2
	s_mul_i32 s15, s11, s2
	s_mul_i32 s24, s17, s0
	s_mul_hi_u32 s2, s17, s2
	s_mul_hi_u32 s19, s17, s0
	s_add_u32 s2, s2, s24
	s_addc_u32 s19, 0, s19
	s_add_u32 s2, s2, s15
	s_mul_hi_u32 s1, s11, s0
	s_addc_u32 s2, s19, s3
	s_addc_u32 s1, s1, 0
	s_mul_i32 s0, s11, s0
	s_add_u32 s0, s2, s0
	s_addc_u32 s2, 0, s1
	s_add_u32 s3, s17, s0
	s_cselect_b64 s[0:1], -1, 0
	s_cmp_lg_u64 s[0:1], 0
	s_addc_u32 s2, s11, s2
	v_mad_u64_u32 v[3:4], s[0:1], v7, s2, 0
	v_mul_hi_u32 v5, v7, s3
	v_addc_co_u32_e64 v8, s[0:1], 0, 0, vcc
	v_add_co_u32_e32 v9, vcc, v5, v3
	v_addc_co_u32_e32 v10, vcc, 0, v4, vcc
	v_mad_u64_u32 v[3:4], s[0:1], v8, s3, 0
	v_mad_u64_u32 v[5:6], s[0:1], v8, s2, 0
	v_add_co_u32_e32 v3, vcc, v9, v3
	v_addc_co_u32_e32 v3, vcc, v10, v4, vcc
	v_addc_co_u32_e32 v4, vcc, 0, v6, vcc
	v_add_co_u32_e32 v3, vcc, v3, v5
	v_addc_co_u32_e32 v4, vcc, 0, v4, vcc
	v_mul_lo_u32 v5, s23, v3
	v_mul_lo_u32 v6, s22, v4
	v_mad_u64_u32 v[3:4], s[0:1], s22, v3, 0
	v_add3_u32 v4, v4, v6, v5
	v_sub_u32_e32 v5, v8, v4
	v_mov_b32_e32 v6, s23
	v_sub_co_u32_e32 v3, vcc, v7, v3
	v_subb_co_u32_e64 v5, s[0:1], v5, v6, vcc
	v_subrev_co_u32_e64 v7, s[0:1], s22, v3
	v_subbrev_co_u32_e64 v9, s[2:3], 0, v5, s[0:1]
	v_cmp_le_u32_e64 s[2:3], s23, v9
	v_cndmask_b32_e64 v10, 0, -1, s[2:3]
	v_cmp_le_u32_e64 s[2:3], s22, v7
	v_subb_co_u32_e64 v5, s[0:1], v5, v6, s[0:1]
	v_cndmask_b32_e64 v12, 0, -1, s[2:3]
	v_cmp_eq_u32_e64 s[2:3], s23, v9
	v_subrev_co_u32_e64 v6, s[0:1], s22, v7
	v_subb_co_u32_e32 v4, vcc, v8, v4, vcc
	v_cndmask_b32_e64 v10, v10, v12, s[2:3]
	v_subbrev_co_u32_e64 v5, s[0:1], 0, v5, s[0:1]
	v_cmp_le_u32_e32 vcc, s23, v4
	v_cmp_ne_u32_e64 s[0:1], 0, v10
	v_cndmask_b32_e64 v8, 0, -1, vcc
	v_cmp_le_u32_e32 vcc, s22, v3
	v_cndmask_b32_e64 v5, v9, v5, s[0:1]
	v_cndmask_b32_e64 v9, 0, -1, vcc
	v_cmp_eq_u32_e32 vcc, s23, v4
	v_cndmask_b32_e32 v8, v8, v9, vcc
	v_cmp_ne_u32_e32 vcc, 0, v8
	v_cndmask_b32_e32 v4, v4, v5, vcc
	v_cndmask_b32_e64 v5, v7, v6, s[0:1]
	v_cndmask_b32_e32 v3, v3, v5, vcc
	v_subrev_co_u32_e32 v7, vcc, 0, v3
	v_subbrev_co_u32_e32 v8, vcc, 0, v4, vcc
.LBB40_8:
	s_andn2_saveexec_b64 s[0:1], s[20:21]
	s_cbranch_execz .LBB40_10
; %bb.9:
	v_cvt_f32_u32_e32 v3, s14
	s_sub_i32 s2, 0, s14
	v_mov_b32_e32 v8, 0
	v_rcp_iflag_f32_e32 v3, v3
	v_mul_f32_e32 v3, 0x4f7ffffe, v3
	v_cvt_u32_f32_e32 v3, v3
	v_mul_lo_u32 v4, s2, v3
	v_mul_hi_u32 v4, v3, v4
	v_add_u32_e32 v3, v3, v4
	v_mul_hi_u32 v3, v1, v3
	v_mul_lo_u32 v3, v3, s14
	v_sub_u32_e32 v3, v1, v3
	v_subrev_u32_e32 v4, s14, v3
	v_cmp_le_u32_e32 vcc, s14, v3
	v_cndmask_b32_e32 v3, v3, v4, vcc
	v_subrev_u32_e32 v4, s14, v3
	v_cmp_le_u32_e32 vcc, s14, v3
	v_cndmask_b32_e32 v7, v3, v4, vcc
.LBB40_10:
	s_or_b64 exec, exec, s[0:1]
	v_lshlrev_b64 v[3:4], 3, v[1:2]
	v_mov_b32_e32 v5, s7
	v_add_co_u32_e32 v3, vcc, s6, v3
	v_addc_co_u32_e32 v4, vcc, v5, v4, vcc
	global_load_dwordx2 v[3:4], v[3:4], off
	s_mov_b64 s[22:23], -1
	s_waitcnt vmcnt(0)
	v_subrev_co_u32_e32 v5, vcc, s18, v3
	v_subbrev_co_u32_e32 v6, vcc, 0, v4, vcc
	v_cmp_lt_i64_e32 vcc, -1, v[5:6]
	s_and_b64 exec, exec, vcc
	s_cbranch_execz .LBB40_35
; %bb.11:
	s_load_dwordx4 s[0:3], s[4:5], 0x0
	s_load_dwordx2 s[6:7], s[4:5], 0x40
                                        ; implicit-def: $vgpr3_vgpr4
	s_waitcnt lgkmcnt(0)
	s_cmp_eq_u32 s2, 1
	s_cselect_b64 s[14:15], -1, 0
	s_cmpk_eq_i32 s0, 0x6f
	s_cselect_b64 s[18:19], -1, 0
	s_cmpk_lg_i32 s0, 0x6f
	s_cselect_b64 s[20:21], -1, 0
	s_cmp_lg_u32 s2, 1
	s_cbranch_scc0 .LBB40_15
; %bb.12:
	v_mov_b32_e32 v3, v7
	s_andn2_b64 vcc, exec, s[18:19]
	v_mov_b32_e32 v4, v8
	s_cbranch_vccnz .LBB40_14
; %bb.13:
	v_mul_lo_u32 v9, v8, s6
	v_mul_lo_u32 v10, v7, s7
	v_mad_u64_u32 v[3:4], s[22:23], v7, s6, 0
	v_add3_u32 v4, v4, v10, v9
.LBB40_14:
	s_mov_b64 s[22:23], 0
.LBB40_15:
	s_andn2_b64 vcc, exec, s[22:23]
	s_cbranch_vccnz .LBB40_19
; %bb.16:
	s_andn2_b64 vcc, exec, s[20:21]
	s_cbranch_vccnz .LBB40_18
; %bb.17:
	v_mul_lo_u32 v3, v8, s6
	v_mul_lo_u32 v4, v7, s7
	v_mad_u64_u32 v[7:8], s[20:21], v7, s6, 0
	v_add3_u32 v8, v8, v4, v3
.LBB40_18:
	v_mov_b32_e32 v3, v7
	v_mov_b32_e32 v4, v8
.LBB40_19:
	s_cmp_eq_u32 s3, 1
	s_cselect_b64 s[22:23], -1, 0
	s_cmpk_eq_i32 s1, 0x6f
	s_cselect_b64 s[24:25], -1, 0
	s_cmpk_lg_i32 s1, 0x6f
	s_cselect_b64 s[0:1], -1, 0
	s_cmp_lg_u32 s3, 1
	s_cbranch_scc0 .LBB40_23
; %bb.20:
	v_mov_b32_e32 v8, v6
	s_andn2_b64 vcc, exec, s[0:1]
	v_mov_b32_e32 v7, v5
	s_cbranch_vccnz .LBB40_22
; %bb.21:
	v_mul_lo_u32 v9, v6, s8
	v_mul_lo_u32 v10, v5, s9
	v_mad_u64_u32 v[7:8], s[0:1], v5, s8, 0
	v_add3_u32 v8, v8, v10, v9
.LBB40_22:
	s_cbranch_execz .LBB40_24
	s_branch .LBB40_27
.LBB40_23:
                                        ; implicit-def: $vgpr7_vgpr8
.LBB40_24:
	s_andn2_b64 vcc, exec, s[24:25]
	s_cbranch_vccnz .LBB40_26
; %bb.25:
	v_mul_lo_u32 v7, v6, s8
	v_mul_lo_u32 v8, v5, s9
	v_mad_u64_u32 v[5:6], s[0:1], v5, s8, 0
	v_add3_u32 v6, v6, v8, v7
.LBB40_26:
	v_mov_b32_e32 v8, v6
	v_mov_b32_e32 v7, v5
.LBB40_27:
	s_load_dwordx2 s[2:3], s[4:5], 0x60
	v_and_b32_e32 v5, 1, v0
	v_mov_b32_e32 v6, 0
	v_cmp_gt_i64_e32 vcc, s[12:13], v[5:6]
	s_and_saveexec_b64 s[20:21], vcc
	s_cbranch_execz .LBB40_31
; %bb.28:
	s_xor_b64 s[0:1], s[18:19], s[14:15]
	s_and_b64 s[0:1], s[0:1], exec
	s_cselect_b32 s1, 0, s7
	s_cselect_b32 s0, 1, s6
	s_xor_b64 s[6:7], s[24:25], s[22:23]
	s_and_b64 s[6:7], s[6:7], exec
	s_cselect_b32 s7, s9, 0
	s_cselect_b32 s6, s8, 1
	v_mul_lo_u32 v10, s7, v5
	v_mul_lo_u32 v9, s6, v5
	v_lshlrev_b64 v[7:8], 2, v[7:8]
	s_load_dwordx2 s[8:9], s[4:5], 0x38
	s_load_dwordx2 s[14:15], s[4:5], 0x48
	v_lshlrev_b64 v[3:4], 2, v[3:4]
	v_lshlrev_b64 v[9:10], 2, v[9:10]
	s_lshl_b64 s[4:5], s[6:7], 3
	v_add_co_u32_e32 v0, vcc, v9, v7
	v_addc_co_u32_e32 v8, vcc, v10, v8, vcc
	v_mul_lo_u32 v10, s1, v5
	v_mul_lo_u32 v9, s0, v5
	s_waitcnt lgkmcnt(0)
	v_mov_b32_e32 v12, s15
	v_add_co_u32_e32 v7, vcc, s14, v0
	v_lshlrev_b64 v[9:10], 2, v[9:10]
	v_addc_co_u32_e32 v8, vcc, v12, v8, vcc
	v_add_co_u32_e32 v0, vcc, v9, v3
	v_addc_co_u32_e32 v4, vcc, v10, v4, vcc
	v_mov_b32_e32 v9, s9
	v_add_co_u32_e32 v3, vcc, s8, v0
	v_addc_co_u32_e32 v4, vcc, v9, v4, vcc
	s_lshl_b64 s[6:7], s[0:1], 3
	v_mov_b32_e32 v13, 0
	v_mov_b32_e32 v10, v6
	s_mov_b64 s[8:9], 0
	v_mov_b32_e32 v0, s5
	v_mov_b32_e32 v12, s7
	;; [unrolled: 1-line block ×4, first 2 shown]
.LBB40_29:                              ; =>This Inner Loop Header: Depth=1
	global_load_dword v13, v[3:4], off
	global_load_dword v14, v[7:8], off
	v_add_co_u32_e32 v9, vcc, 2, v9
	v_addc_co_u32_e32 v10, vcc, 0, v10, vcc
	v_add_co_u32_e32 v7, vcc, s4, v7
	v_addc_co_u32_e32 v8, vcc, v8, v0, vcc
	v_cmp_le_i64_e64 s[0:1], s[12:13], v[9:10]
	v_add_co_u32_e32 v3, vcc, s6, v3
	v_addc_co_u32_e32 v4, vcc, v4, v12, vcc
	s_or_b64 s[8:9], s[0:1], s[8:9]
	s_waitcnt vmcnt(0)
	v_fmac_f32_e32 v6, v13, v14
	s_andn2_b64 exec, exec, s[8:9]
	s_cbranch_execnz .LBB40_29
; %bb.30:
	s_or_b64 exec, exec, s[8:9]
.LBB40_31:
	s_or_b64 exec, exec, s[20:21]
	v_lshlrev_b32_e32 v0, 3, v11
	v_lshl_or_b32 v3, v5, 2, v0
	v_cmp_eq_u32_e32 vcc, 0, v5
	ds_write_b32 v3, v6
	s_waitcnt lgkmcnt(0)
	s_barrier
	s_and_saveexec_b64 s[0:1], vcc
	s_cbranch_execz .LBB40_33
; %bb.32:
	ds_read_b32 v4, v0 offset:4
	ds_read_b32 v5, v3
	s_waitcnt lgkmcnt(0)
	v_add_f32_e32 v4, v4, v5
	ds_write_b32 v3, v4
.LBB40_33:
	s_or_b64 exec, exec, s[0:1]
	s_waitcnt lgkmcnt(0)
	s_barrier
	s_and_b64 exec, exec, vcc
	s_cbranch_execz .LBB40_35
; %bb.34:
	v_lshlrev_b64 v[1:2], 2, v[1:2]
	v_mov_b32_e32 v3, s3
	v_add_co_u32_e32 v1, vcc, s2, v1
	v_addc_co_u32_e32 v2, vcc, v3, v2, vcc
	global_load_dword v3, v[1:2], off
	ds_read_b32 v0, v0
	s_waitcnt lgkmcnt(0)
	v_mul_f32_e32 v0, s16, v0
	s_waitcnt vmcnt(0)
	v_fmac_f32_e32 v0, s10, v3
	global_store_dword v[1:2], v0, off
.LBB40_35:
	s_endpgm
	.section	.rodata,"a",@progbits
	.p2align	6, 0x0
	.amdhsa_kernel _ZN9rocsparseL16sddmm_ell_kernelILi512ELi2EfllfffEEv20rocsparse_operation_S1_16rocsparse_order_S2_T3_S3_S3_T2_NS_24const_host_device_scalarIT1_EEPKT4_lPKT5_lS7_PT6_PKS3_21rocsparse_index_base_b
		.amdhsa_group_segment_fixed_size 2048
		.amdhsa_private_segment_fixed_size 0
		.amdhsa_kernarg_size 120
		.amdhsa_user_sgpr_count 6
		.amdhsa_user_sgpr_private_segment_buffer 1
		.amdhsa_user_sgpr_dispatch_ptr 0
		.amdhsa_user_sgpr_queue_ptr 0
		.amdhsa_user_sgpr_kernarg_segment_ptr 1
		.amdhsa_user_sgpr_dispatch_id 0
		.amdhsa_user_sgpr_flat_scratch_init 0
		.amdhsa_user_sgpr_private_segment_size 0
		.amdhsa_uses_dynamic_stack 0
		.amdhsa_system_sgpr_private_segment_wavefront_offset 0
		.amdhsa_system_sgpr_workgroup_id_x 1
		.amdhsa_system_sgpr_workgroup_id_y 0
		.amdhsa_system_sgpr_workgroup_id_z 0
		.amdhsa_system_sgpr_workgroup_info 0
		.amdhsa_system_vgpr_workitem_id 0
		.amdhsa_next_free_vgpr 15
		.amdhsa_next_free_sgpr 26
		.amdhsa_reserve_vcc 1
		.amdhsa_reserve_flat_scratch 0
		.amdhsa_float_round_mode_32 0
		.amdhsa_float_round_mode_16_64 0
		.amdhsa_float_denorm_mode_32 3
		.amdhsa_float_denorm_mode_16_64 3
		.amdhsa_dx10_clamp 1
		.amdhsa_ieee_mode 1
		.amdhsa_fp16_overflow 0
		.amdhsa_exception_fp_ieee_invalid_op 0
		.amdhsa_exception_fp_denorm_src 0
		.amdhsa_exception_fp_ieee_div_zero 0
		.amdhsa_exception_fp_ieee_overflow 0
		.amdhsa_exception_fp_ieee_underflow 0
		.amdhsa_exception_fp_ieee_inexact 0
		.amdhsa_exception_int_div_zero 0
	.end_amdhsa_kernel
	.section	.text._ZN9rocsparseL16sddmm_ell_kernelILi512ELi2EfllfffEEv20rocsparse_operation_S1_16rocsparse_order_S2_T3_S3_S3_T2_NS_24const_host_device_scalarIT1_EEPKT4_lPKT5_lS7_PT6_PKS3_21rocsparse_index_base_b,"axG",@progbits,_ZN9rocsparseL16sddmm_ell_kernelILi512ELi2EfllfffEEv20rocsparse_operation_S1_16rocsparse_order_S2_T3_S3_S3_T2_NS_24const_host_device_scalarIT1_EEPKT4_lPKT5_lS7_PT6_PKS3_21rocsparse_index_base_b,comdat
.Lfunc_end40:
	.size	_ZN9rocsparseL16sddmm_ell_kernelILi512ELi2EfllfffEEv20rocsparse_operation_S1_16rocsparse_order_S2_T3_S3_S3_T2_NS_24const_host_device_scalarIT1_EEPKT4_lPKT5_lS7_PT6_PKS3_21rocsparse_index_base_b, .Lfunc_end40-_ZN9rocsparseL16sddmm_ell_kernelILi512ELi2EfllfffEEv20rocsparse_operation_S1_16rocsparse_order_S2_T3_S3_S3_T2_NS_24const_host_device_scalarIT1_EEPKT4_lPKT5_lS7_PT6_PKS3_21rocsparse_index_base_b
                                        ; -- End function
	.set _ZN9rocsparseL16sddmm_ell_kernelILi512ELi2EfllfffEEv20rocsparse_operation_S1_16rocsparse_order_S2_T3_S3_S3_T2_NS_24const_host_device_scalarIT1_EEPKT4_lPKT5_lS7_PT6_PKS3_21rocsparse_index_base_b.num_vgpr, 15
	.set _ZN9rocsparseL16sddmm_ell_kernelILi512ELi2EfllfffEEv20rocsparse_operation_S1_16rocsparse_order_S2_T3_S3_S3_T2_NS_24const_host_device_scalarIT1_EEPKT4_lPKT5_lS7_PT6_PKS3_21rocsparse_index_base_b.num_agpr, 0
	.set _ZN9rocsparseL16sddmm_ell_kernelILi512ELi2EfllfffEEv20rocsparse_operation_S1_16rocsparse_order_S2_T3_S3_S3_T2_NS_24const_host_device_scalarIT1_EEPKT4_lPKT5_lS7_PT6_PKS3_21rocsparse_index_base_b.numbered_sgpr, 26
	.set _ZN9rocsparseL16sddmm_ell_kernelILi512ELi2EfllfffEEv20rocsparse_operation_S1_16rocsparse_order_S2_T3_S3_S3_T2_NS_24const_host_device_scalarIT1_EEPKT4_lPKT5_lS7_PT6_PKS3_21rocsparse_index_base_b.num_named_barrier, 0
	.set _ZN9rocsparseL16sddmm_ell_kernelILi512ELi2EfllfffEEv20rocsparse_operation_S1_16rocsparse_order_S2_T3_S3_S3_T2_NS_24const_host_device_scalarIT1_EEPKT4_lPKT5_lS7_PT6_PKS3_21rocsparse_index_base_b.private_seg_size, 0
	.set _ZN9rocsparseL16sddmm_ell_kernelILi512ELi2EfllfffEEv20rocsparse_operation_S1_16rocsparse_order_S2_T3_S3_S3_T2_NS_24const_host_device_scalarIT1_EEPKT4_lPKT5_lS7_PT6_PKS3_21rocsparse_index_base_b.uses_vcc, 1
	.set _ZN9rocsparseL16sddmm_ell_kernelILi512ELi2EfllfffEEv20rocsparse_operation_S1_16rocsparse_order_S2_T3_S3_S3_T2_NS_24const_host_device_scalarIT1_EEPKT4_lPKT5_lS7_PT6_PKS3_21rocsparse_index_base_b.uses_flat_scratch, 0
	.set _ZN9rocsparseL16sddmm_ell_kernelILi512ELi2EfllfffEEv20rocsparse_operation_S1_16rocsparse_order_S2_T3_S3_S3_T2_NS_24const_host_device_scalarIT1_EEPKT4_lPKT5_lS7_PT6_PKS3_21rocsparse_index_base_b.has_dyn_sized_stack, 0
	.set _ZN9rocsparseL16sddmm_ell_kernelILi512ELi2EfllfffEEv20rocsparse_operation_S1_16rocsparse_order_S2_T3_S3_S3_T2_NS_24const_host_device_scalarIT1_EEPKT4_lPKT5_lS7_PT6_PKS3_21rocsparse_index_base_b.has_recursion, 0
	.set _ZN9rocsparseL16sddmm_ell_kernelILi512ELi2EfllfffEEv20rocsparse_operation_S1_16rocsparse_order_S2_T3_S3_S3_T2_NS_24const_host_device_scalarIT1_EEPKT4_lPKT5_lS7_PT6_PKS3_21rocsparse_index_base_b.has_indirect_call, 0
	.section	.AMDGPU.csdata,"",@progbits
; Kernel info:
; codeLenInByte = 1684
; TotalNumSgprs: 30
; NumVgprs: 15
; ScratchSize: 0
; MemoryBound: 0
; FloatMode: 240
; IeeeMode: 1
; LDSByteSize: 2048 bytes/workgroup (compile time only)
; SGPRBlocks: 3
; VGPRBlocks: 3
; NumSGPRsForWavesPerEU: 30
; NumVGPRsForWavesPerEU: 15
; Occupancy: 10
; WaveLimiterHint : 0
; COMPUTE_PGM_RSRC2:SCRATCH_EN: 0
; COMPUTE_PGM_RSRC2:USER_SGPR: 6
; COMPUTE_PGM_RSRC2:TRAP_HANDLER: 0
; COMPUTE_PGM_RSRC2:TGID_X_EN: 1
; COMPUTE_PGM_RSRC2:TGID_Y_EN: 0
; COMPUTE_PGM_RSRC2:TGID_Z_EN: 0
; COMPUTE_PGM_RSRC2:TIDIG_COMP_CNT: 0
	.section	.text._ZN9rocsparseL16sddmm_ell_kernelILi512ELi1EfllfffEEv20rocsparse_operation_S1_16rocsparse_order_S2_T3_S3_S3_T2_NS_24const_host_device_scalarIT1_EEPKT4_lPKT5_lS7_PT6_PKS3_21rocsparse_index_base_b,"axG",@progbits,_ZN9rocsparseL16sddmm_ell_kernelILi512ELi1EfllfffEEv20rocsparse_operation_S1_16rocsparse_order_S2_T3_S3_S3_T2_NS_24const_host_device_scalarIT1_EEPKT4_lPKT5_lS7_PT6_PKS3_21rocsparse_index_base_b,comdat
	.globl	_ZN9rocsparseL16sddmm_ell_kernelILi512ELi1EfllfffEEv20rocsparse_operation_S1_16rocsparse_order_S2_T3_S3_S3_T2_NS_24const_host_device_scalarIT1_EEPKT4_lPKT5_lS7_PT6_PKS3_21rocsparse_index_base_b ; -- Begin function _ZN9rocsparseL16sddmm_ell_kernelILi512ELi1EfllfffEEv20rocsparse_operation_S1_16rocsparse_order_S2_T3_S3_S3_T2_NS_24const_host_device_scalarIT1_EEPKT4_lPKT5_lS7_PT6_PKS3_21rocsparse_index_base_b
	.p2align	8
	.type	_ZN9rocsparseL16sddmm_ell_kernelILi512ELi1EfllfffEEv20rocsparse_operation_S1_16rocsparse_order_S2_T3_S3_S3_T2_NS_24const_host_device_scalarIT1_EEPKT4_lPKT5_lS7_PT6_PKS3_21rocsparse_index_base_b,@function
_ZN9rocsparseL16sddmm_ell_kernelILi512ELi1EfllfffEEv20rocsparse_operation_S1_16rocsparse_order_S2_T3_S3_S3_T2_NS_24const_host_device_scalarIT1_EEPKT4_lPKT5_lS7_PT6_PKS3_21rocsparse_index_base_b: ; @_ZN9rocsparseL16sddmm_ell_kernelILi512ELi1EfllfffEEv20rocsparse_operation_S1_16rocsparse_order_S2_T3_S3_S3_T2_NS_24const_host_device_scalarIT1_EEPKT4_lPKT5_lS7_PT6_PKS3_21rocsparse_index_base_b
; %bb.0:
	s_load_dwordx2 s[18:19], s[4:5], 0x70
	s_load_dwordx2 s[16:17], s[4:5], 0x30
	s_load_dwordx4 s[8:11], s[4:5], 0x50
	s_waitcnt lgkmcnt(0)
	s_bitcmp1_b32 s19, 0
	s_cselect_b64 s[2:3], -1, 0
	s_xor_b64 s[0:1], s[2:3], -1
	s_and_b64 vcc, exec, s[2:3]
	s_cbranch_vccnz .LBB41_2
; %bb.1:
	s_load_dword s16, s[16:17], 0x0
.LBB41_2:
	s_andn2_b64 vcc, exec, s[0:1]
	s_cbranch_vccnz .LBB41_4
; %bb.3:
	s_load_dword s10, s[10:11], 0x0
.LBB41_4:
	s_waitcnt lgkmcnt(0)
	v_cmp_eq_f32_e64 s[0:1], s16, 0
	v_cmp_eq_f32_e64 s[2:3], s10, 1.0
	s_and_b64 s[0:1], s[0:1], s[2:3]
	s_and_b64 vcc, exec, s[0:1]
	s_cbranch_vccnz .LBB41_32
; %bb.5:
	s_load_dwordx4 s[12:15], s[4:5], 0x20
	v_lshl_or_b32 v1, s6, 9, v0
	v_mov_b32_e32 v2, 0
	s_waitcnt lgkmcnt(0)
	v_cmp_gt_i64_e32 vcc, s[14:15], v[1:2]
	s_and_saveexec_b64 s[0:1], vcc
	s_cbranch_execz .LBB41_32
; %bb.6:
	s_load_dwordx2 s[14:15], s[4:5], 0x10
	s_load_dwordx2 s[6:7], s[4:5], 0x68
	s_mov_b32 s0, 0
                                        ; implicit-def: $vgpr7_vgpr8
	s_waitcnt lgkmcnt(0)
	s_mov_b32 s1, s15
	s_cmp_lg_u64 s[0:1], 0
	s_cselect_b64 s[0:1], -1, 0
	s_and_saveexec_b64 s[2:3], s[0:1]
	s_xor_b64 s[20:21], exec, s[2:3]
	s_cbranch_execz .LBB41_8
; %bb.7:
	s_ashr_i32 s0, s15, 31
	s_add_u32 s2, s14, s0
	s_mov_b32 s1, s0
	s_addc_u32 s3, s15, s0
	s_xor_b64 s[22:23], s[2:3], s[0:1]
	v_cvt_f32_u32_e32 v3, s22
	v_cvt_f32_u32_e32 v4, s23
	s_sub_u32 s2, 0, s22
	s_subb_u32 s3, 0, s23
	v_add_co_u32_e32 v7, vcc, 0, v1
	v_madmk_f32 v3, v4, 0x4f800000, v3
	v_rcp_f32_e32 v3, v3
	v_mul_f32_e32 v3, 0x5f7ffffc, v3
	v_mul_f32_e32 v4, 0x2f800000, v3
	v_trunc_f32_e32 v4, v4
	v_madmk_f32 v3, v4, 0xcf800000, v3
	v_cvt_u32_f32_e32 v4, v4
	v_cvt_u32_f32_e32 v3, v3
	v_readfirstlane_b32 s11, v4
	v_readfirstlane_b32 s0, v3
	s_mul_i32 s1, s2, s11
	s_mul_hi_u32 s17, s2, s0
	s_mul_i32 s15, s3, s0
	s_add_i32 s1, s17, s1
	s_add_i32 s1, s1, s15
	s_mul_i32 s19, s2, s0
	s_mul_i32 s17, s0, s1
	s_mul_hi_u32 s24, s0, s19
	s_mul_hi_u32 s15, s0, s1
	s_add_u32 s17, s24, s17
	s_addc_u32 s15, 0, s15
	s_mul_hi_u32 s25, s11, s19
	s_mul_i32 s19, s11, s19
	s_add_u32 s17, s17, s19
	s_mul_hi_u32 s24, s11, s1
	s_addc_u32 s15, s15, s25
	s_addc_u32 s17, s24, 0
	s_mul_i32 s1, s11, s1
	s_add_u32 s1, s15, s1
	s_addc_u32 s15, 0, s17
	s_add_u32 s17, s0, s1
	s_cselect_b64 s[0:1], -1, 0
	s_cmp_lg_u64 s[0:1], 0
	s_addc_u32 s11, s11, s15
	s_mul_i32 s0, s2, s11
	s_mul_hi_u32 s1, s2, s17
	s_add_i32 s0, s1, s0
	s_mul_i32 s3, s3, s17
	s_add_i32 s0, s0, s3
	s_mul_i32 s2, s2, s17
	s_mul_hi_u32 s3, s11, s2
	s_mul_i32 s15, s11, s2
	s_mul_i32 s24, s17, s0
	s_mul_hi_u32 s2, s17, s2
	s_mul_hi_u32 s19, s17, s0
	s_add_u32 s2, s2, s24
	s_addc_u32 s19, 0, s19
	s_add_u32 s2, s2, s15
	s_mul_hi_u32 s1, s11, s0
	s_addc_u32 s2, s19, s3
	s_addc_u32 s1, s1, 0
	s_mul_i32 s0, s11, s0
	s_add_u32 s0, s2, s0
	s_addc_u32 s2, 0, s1
	s_add_u32 s3, s17, s0
	s_cselect_b64 s[0:1], -1, 0
	s_cmp_lg_u64 s[0:1], 0
	s_addc_u32 s2, s11, s2
	v_mad_u64_u32 v[3:4], s[0:1], v7, s2, 0
	v_mul_hi_u32 v5, v7, s3
	v_addc_co_u32_e64 v8, s[0:1], 0, 0, vcc
	v_add_co_u32_e32 v9, vcc, v5, v3
	v_addc_co_u32_e32 v10, vcc, 0, v4, vcc
	v_mad_u64_u32 v[3:4], s[0:1], v8, s3, 0
	v_mad_u64_u32 v[5:6], s[0:1], v8, s2, 0
	v_add_co_u32_e32 v3, vcc, v9, v3
	v_addc_co_u32_e32 v3, vcc, v10, v4, vcc
	v_addc_co_u32_e32 v4, vcc, 0, v6, vcc
	v_add_co_u32_e32 v3, vcc, v3, v5
	v_addc_co_u32_e32 v4, vcc, 0, v4, vcc
	v_mul_lo_u32 v5, s23, v3
	v_mul_lo_u32 v6, s22, v4
	v_mad_u64_u32 v[3:4], s[0:1], s22, v3, 0
	v_add3_u32 v4, v4, v6, v5
	v_sub_u32_e32 v5, v8, v4
	v_mov_b32_e32 v6, s23
	v_sub_co_u32_e32 v3, vcc, v7, v3
	v_subb_co_u32_e64 v5, s[0:1], v5, v6, vcc
	v_subrev_co_u32_e64 v7, s[0:1], s22, v3
	v_subbrev_co_u32_e64 v9, s[2:3], 0, v5, s[0:1]
	v_cmp_le_u32_e64 s[2:3], s23, v9
	v_cndmask_b32_e64 v10, 0, -1, s[2:3]
	v_cmp_le_u32_e64 s[2:3], s22, v7
	v_subb_co_u32_e64 v5, s[0:1], v5, v6, s[0:1]
	v_cndmask_b32_e64 v11, 0, -1, s[2:3]
	v_cmp_eq_u32_e64 s[2:3], s23, v9
	v_subrev_co_u32_e64 v6, s[0:1], s22, v7
	v_subb_co_u32_e32 v4, vcc, v8, v4, vcc
	v_cndmask_b32_e64 v10, v10, v11, s[2:3]
	v_subbrev_co_u32_e64 v5, s[0:1], 0, v5, s[0:1]
	v_cmp_le_u32_e32 vcc, s23, v4
	v_cmp_ne_u32_e64 s[0:1], 0, v10
	v_cndmask_b32_e64 v8, 0, -1, vcc
	v_cmp_le_u32_e32 vcc, s22, v3
	v_cndmask_b32_e64 v5, v9, v5, s[0:1]
	v_cndmask_b32_e64 v9, 0, -1, vcc
	v_cmp_eq_u32_e32 vcc, s23, v4
	v_cndmask_b32_e32 v8, v8, v9, vcc
	v_cmp_ne_u32_e32 vcc, 0, v8
	v_cndmask_b32_e32 v4, v4, v5, vcc
	v_cndmask_b32_e64 v5, v7, v6, s[0:1]
	v_cndmask_b32_e32 v3, v3, v5, vcc
	v_subrev_co_u32_e32 v7, vcc, 0, v3
	v_subbrev_co_u32_e32 v8, vcc, 0, v4, vcc
.LBB41_8:
	s_andn2_saveexec_b64 s[0:1], s[20:21]
	s_cbranch_execz .LBB41_10
; %bb.9:
	v_cvt_f32_u32_e32 v3, s14
	s_sub_i32 s2, 0, s14
	v_mov_b32_e32 v8, 0
	v_rcp_iflag_f32_e32 v3, v3
	v_mul_f32_e32 v3, 0x4f7ffffe, v3
	v_cvt_u32_f32_e32 v3, v3
	v_mul_lo_u32 v4, s2, v3
	v_mul_hi_u32 v4, v3, v4
	v_add_u32_e32 v3, v3, v4
	v_mul_hi_u32 v3, v1, v3
	v_mul_lo_u32 v3, v3, s14
	v_sub_u32_e32 v3, v1, v3
	v_subrev_u32_e32 v4, s14, v3
	v_cmp_le_u32_e32 vcc, s14, v3
	v_cndmask_b32_e32 v3, v3, v4, vcc
	v_subrev_u32_e32 v4, s14, v3
	v_cmp_le_u32_e32 vcc, s14, v3
	v_cndmask_b32_e32 v7, v3, v4, vcc
.LBB41_10:
	s_or_b64 exec, exec, s[0:1]
	v_lshlrev_b64 v[3:4], 3, v[1:2]
	v_mov_b32_e32 v5, s7
	v_add_co_u32_e32 v3, vcc, s6, v3
	v_addc_co_u32_e32 v4, vcc, v5, v4, vcc
	global_load_dwordx2 v[3:4], v[3:4], off
	s_mov_b64 s[22:23], -1
	s_waitcnt vmcnt(0)
	v_subrev_co_u32_e32 v3, vcc, s18, v3
	v_subbrev_co_u32_e32 v4, vcc, 0, v4, vcc
	v_cmp_lt_i64_e32 vcc, -1, v[3:4]
	s_and_b64 exec, exec, vcc
	s_cbranch_execz .LBB41_32
; %bb.11:
	s_load_dwordx4 s[0:3], s[4:5], 0x0
	s_load_dwordx2 s[6:7], s[4:5], 0x40
                                        ; implicit-def: $vgpr5_vgpr6
	s_waitcnt lgkmcnt(0)
	s_cmp_eq_u32 s2, 1
	s_cselect_b64 s[14:15], -1, 0
	s_cmpk_eq_i32 s0, 0x6f
	s_cselect_b64 s[18:19], -1, 0
	s_cmpk_lg_i32 s0, 0x6f
	s_cselect_b64 s[20:21], -1, 0
	s_cmp_lg_u32 s2, 1
	s_cbranch_scc0 .LBB41_15
; %bb.12:
	v_mov_b32_e32 v5, v7
	s_andn2_b64 vcc, exec, s[18:19]
	v_mov_b32_e32 v6, v8
	s_cbranch_vccnz .LBB41_14
; %bb.13:
	v_mul_lo_u32 v9, v8, s6
	v_mul_lo_u32 v10, v7, s7
	v_mad_u64_u32 v[5:6], s[22:23], v7, s6, 0
	v_add3_u32 v6, v6, v10, v9
.LBB41_14:
	s_mov_b64 s[22:23], 0
.LBB41_15:
	s_andn2_b64 vcc, exec, s[22:23]
	s_cbranch_vccnz .LBB41_19
; %bb.16:
	s_andn2_b64 vcc, exec, s[20:21]
	s_cbranch_vccnz .LBB41_18
; %bb.17:
	v_mul_lo_u32 v5, v8, s6
	v_mul_lo_u32 v6, v7, s7
	v_mad_u64_u32 v[7:8], s[20:21], v7, s6, 0
	v_add3_u32 v8, v8, v6, v5
.LBB41_18:
	v_mov_b32_e32 v5, v7
	v_mov_b32_e32 v6, v8
.LBB41_19:
	s_cmp_eq_u32 s3, 1
	s_cselect_b64 s[20:21], -1, 0
	s_cmpk_eq_i32 s1, 0x6f
	s_cselect_b64 s[22:23], -1, 0
	s_cmpk_lg_i32 s1, 0x6f
	s_cselect_b64 s[0:1], -1, 0
	s_cmp_lg_u32 s3, 1
	s_cbranch_scc0 .LBB41_23
; %bb.20:
	v_mov_b32_e32 v8, v4
	s_andn2_b64 vcc, exec, s[0:1]
	v_mov_b32_e32 v7, v3
	s_cbranch_vccnz .LBB41_22
; %bb.21:
	v_mul_lo_u32 v9, v4, s8
	v_mul_lo_u32 v10, v3, s9
	v_mad_u64_u32 v[7:8], s[0:1], v3, s8, 0
	v_add3_u32 v8, v8, v10, v9
.LBB41_22:
	s_cbranch_execz .LBB41_24
	s_branch .LBB41_27
.LBB41_23:
                                        ; implicit-def: $vgpr7_vgpr8
.LBB41_24:
	s_andn2_b64 vcc, exec, s[22:23]
	s_cbranch_vccnz .LBB41_26
; %bb.25:
	v_mul_lo_u32 v7, v4, s8
	v_mul_lo_u32 v8, v3, s9
	v_mad_u64_u32 v[3:4], s[0:1], v3, s8, 0
	v_add3_u32 v4, v4, v8, v7
.LBB41_26:
	v_mov_b32_e32 v8, v4
	v_mov_b32_e32 v7, v3
.LBB41_27:
	s_load_dwordx2 s[0:1], s[4:5], 0x60
	v_cmp_lt_i64_e64 s[2:3], s[12:13], 1
	s_and_b64 vcc, exec, s[2:3]
	s_cbranch_vccnz .LBB41_30
; %bb.28:
	s_load_dwordx2 s[2:3], s[4:5], 0x48
	s_load_dwordx2 s[24:25], s[4:5], 0x38
	v_lshlrev_b64 v[3:4], 2, v[7:8]
	v_lshlrev_b64 v[5:6], 2, v[5:6]
	s_waitcnt lgkmcnt(0)
	v_mov_b32_e32 v7, s3
	v_add_co_u32_e32 v3, vcc, s2, v3
	s_xor_b64 s[2:3], s[18:19], s[14:15]
	s_and_b64 s[2:3], s[2:3], exec
	s_cselect_b32 s5, 0, s7
	s_cselect_b32 s4, 1, s6
	s_xor_b64 s[2:3], s[22:23], s[20:21]
	s_and_b64 s[2:3], s[2:3], exec
	v_addc_co_u32_e32 v4, vcc, v7, v4, vcc
	s_cselect_b32 s3, s9, 0
	s_cselect_b32 s2, s8, 1
	v_mov_b32_e32 v7, s25
	v_add_co_u32_e32 v5, vcc, s24, v5
	s_lshl_b64 s[2:3], s[2:3], 2
	s_lshl_b64 s[4:5], s[4:5], 2
	v_addc_co_u32_e32 v6, vcc, v7, v6, vcc
	v_mov_b32_e32 v7, 0
	v_mov_b32_e32 v8, s3
	;; [unrolled: 1-line block ×3, first 2 shown]
.LBB41_29:                              ; =>This Inner Loop Header: Depth=1
	global_load_dword v10, v[5:6], off
	global_load_dword v11, v[3:4], off
	v_add_co_u32_e32 v3, vcc, s2, v3
	s_add_u32 s12, s12, -1
	v_addc_co_u32_e32 v4, vcc, v4, v8, vcc
	v_add_co_u32_e32 v5, vcc, s4, v5
	s_addc_u32 s13, s13, -1
	v_addc_co_u32_e32 v6, vcc, v6, v9, vcc
	s_cmp_eq_u64 s[12:13], 0
	s_waitcnt vmcnt(0)
	v_fmac_f32_e32 v7, v10, v11
	s_cbranch_scc0 .LBB41_29
	s_branch .LBB41_31
.LBB41_30:
	v_mov_b32_e32 v7, 0
.LBB41_31:
	v_lshlrev_b32_e32 v3, 2, v0
	v_lshlrev_b64 v[0:1], 2, v[1:2]
	s_waitcnt lgkmcnt(0)
	v_mov_b32_e32 v2, s1
	v_add_co_u32_e32 v0, vcc, s0, v0
	v_addc_co_u32_e32 v1, vcc, v2, v1, vcc
	ds_write_b32 v3, v7
	s_waitcnt lgkmcnt(0)
	s_barrier
	global_load_dword v2, v[0:1], off
	ds_read_b32 v3, v3
	s_waitcnt lgkmcnt(0)
	v_mul_f32_e32 v3, s16, v3
	s_waitcnt vmcnt(0)
	v_fmac_f32_e32 v3, s10, v2
	global_store_dword v[0:1], v3, off
.LBB41_32:
	s_endpgm
	.section	.rodata,"a",@progbits
	.p2align	6, 0x0
	.amdhsa_kernel _ZN9rocsparseL16sddmm_ell_kernelILi512ELi1EfllfffEEv20rocsparse_operation_S1_16rocsparse_order_S2_T3_S3_S3_T2_NS_24const_host_device_scalarIT1_EEPKT4_lPKT5_lS7_PT6_PKS3_21rocsparse_index_base_b
		.amdhsa_group_segment_fixed_size 2048
		.amdhsa_private_segment_fixed_size 0
		.amdhsa_kernarg_size 120
		.amdhsa_user_sgpr_count 6
		.amdhsa_user_sgpr_private_segment_buffer 1
		.amdhsa_user_sgpr_dispatch_ptr 0
		.amdhsa_user_sgpr_queue_ptr 0
		.amdhsa_user_sgpr_kernarg_segment_ptr 1
		.amdhsa_user_sgpr_dispatch_id 0
		.amdhsa_user_sgpr_flat_scratch_init 0
		.amdhsa_user_sgpr_private_segment_size 0
		.amdhsa_uses_dynamic_stack 0
		.amdhsa_system_sgpr_private_segment_wavefront_offset 0
		.amdhsa_system_sgpr_workgroup_id_x 1
		.amdhsa_system_sgpr_workgroup_id_y 0
		.amdhsa_system_sgpr_workgroup_id_z 0
		.amdhsa_system_sgpr_workgroup_info 0
		.amdhsa_system_vgpr_workitem_id 0
		.amdhsa_next_free_vgpr 12
		.amdhsa_next_free_sgpr 26
		.amdhsa_reserve_vcc 1
		.amdhsa_reserve_flat_scratch 0
		.amdhsa_float_round_mode_32 0
		.amdhsa_float_round_mode_16_64 0
		.amdhsa_float_denorm_mode_32 3
		.amdhsa_float_denorm_mode_16_64 3
		.amdhsa_dx10_clamp 1
		.amdhsa_ieee_mode 1
		.amdhsa_fp16_overflow 0
		.amdhsa_exception_fp_ieee_invalid_op 0
		.amdhsa_exception_fp_denorm_src 0
		.amdhsa_exception_fp_ieee_div_zero 0
		.amdhsa_exception_fp_ieee_overflow 0
		.amdhsa_exception_fp_ieee_underflow 0
		.amdhsa_exception_fp_ieee_inexact 0
		.amdhsa_exception_int_div_zero 0
	.end_amdhsa_kernel
	.section	.text._ZN9rocsparseL16sddmm_ell_kernelILi512ELi1EfllfffEEv20rocsparse_operation_S1_16rocsparse_order_S2_T3_S3_S3_T2_NS_24const_host_device_scalarIT1_EEPKT4_lPKT5_lS7_PT6_PKS3_21rocsparse_index_base_b,"axG",@progbits,_ZN9rocsparseL16sddmm_ell_kernelILi512ELi1EfllfffEEv20rocsparse_operation_S1_16rocsparse_order_S2_T3_S3_S3_T2_NS_24const_host_device_scalarIT1_EEPKT4_lPKT5_lS7_PT6_PKS3_21rocsparse_index_base_b,comdat
.Lfunc_end41:
	.size	_ZN9rocsparseL16sddmm_ell_kernelILi512ELi1EfllfffEEv20rocsparse_operation_S1_16rocsparse_order_S2_T3_S3_S3_T2_NS_24const_host_device_scalarIT1_EEPKT4_lPKT5_lS7_PT6_PKS3_21rocsparse_index_base_b, .Lfunc_end41-_ZN9rocsparseL16sddmm_ell_kernelILi512ELi1EfllfffEEv20rocsparse_operation_S1_16rocsparse_order_S2_T3_S3_S3_T2_NS_24const_host_device_scalarIT1_EEPKT4_lPKT5_lS7_PT6_PKS3_21rocsparse_index_base_b
                                        ; -- End function
	.set _ZN9rocsparseL16sddmm_ell_kernelILi512ELi1EfllfffEEv20rocsparse_operation_S1_16rocsparse_order_S2_T3_S3_S3_T2_NS_24const_host_device_scalarIT1_EEPKT4_lPKT5_lS7_PT6_PKS3_21rocsparse_index_base_b.num_vgpr, 12
	.set _ZN9rocsparseL16sddmm_ell_kernelILi512ELi1EfllfffEEv20rocsparse_operation_S1_16rocsparse_order_S2_T3_S3_S3_T2_NS_24const_host_device_scalarIT1_EEPKT4_lPKT5_lS7_PT6_PKS3_21rocsparse_index_base_b.num_agpr, 0
	.set _ZN9rocsparseL16sddmm_ell_kernelILi512ELi1EfllfffEEv20rocsparse_operation_S1_16rocsparse_order_S2_T3_S3_S3_T2_NS_24const_host_device_scalarIT1_EEPKT4_lPKT5_lS7_PT6_PKS3_21rocsparse_index_base_b.numbered_sgpr, 26
	.set _ZN9rocsparseL16sddmm_ell_kernelILi512ELi1EfllfffEEv20rocsparse_operation_S1_16rocsparse_order_S2_T3_S3_S3_T2_NS_24const_host_device_scalarIT1_EEPKT4_lPKT5_lS7_PT6_PKS3_21rocsparse_index_base_b.num_named_barrier, 0
	.set _ZN9rocsparseL16sddmm_ell_kernelILi512ELi1EfllfffEEv20rocsparse_operation_S1_16rocsparse_order_S2_T3_S3_S3_T2_NS_24const_host_device_scalarIT1_EEPKT4_lPKT5_lS7_PT6_PKS3_21rocsparse_index_base_b.private_seg_size, 0
	.set _ZN9rocsparseL16sddmm_ell_kernelILi512ELi1EfllfffEEv20rocsparse_operation_S1_16rocsparse_order_S2_T3_S3_S3_T2_NS_24const_host_device_scalarIT1_EEPKT4_lPKT5_lS7_PT6_PKS3_21rocsparse_index_base_b.uses_vcc, 1
	.set _ZN9rocsparseL16sddmm_ell_kernelILi512ELi1EfllfffEEv20rocsparse_operation_S1_16rocsparse_order_S2_T3_S3_S3_T2_NS_24const_host_device_scalarIT1_EEPKT4_lPKT5_lS7_PT6_PKS3_21rocsparse_index_base_b.uses_flat_scratch, 0
	.set _ZN9rocsparseL16sddmm_ell_kernelILi512ELi1EfllfffEEv20rocsparse_operation_S1_16rocsparse_order_S2_T3_S3_S3_T2_NS_24const_host_device_scalarIT1_EEPKT4_lPKT5_lS7_PT6_PKS3_21rocsparse_index_base_b.has_dyn_sized_stack, 0
	.set _ZN9rocsparseL16sddmm_ell_kernelILi512ELi1EfllfffEEv20rocsparse_operation_S1_16rocsparse_order_S2_T3_S3_S3_T2_NS_24const_host_device_scalarIT1_EEPKT4_lPKT5_lS7_PT6_PKS3_21rocsparse_index_base_b.has_recursion, 0
	.set _ZN9rocsparseL16sddmm_ell_kernelILi512ELi1EfllfffEEv20rocsparse_operation_S1_16rocsparse_order_S2_T3_S3_S3_T2_NS_24const_host_device_scalarIT1_EEPKT4_lPKT5_lS7_PT6_PKS3_21rocsparse_index_base_b.has_indirect_call, 0
	.section	.AMDGPU.csdata,"",@progbits
; Kernel info:
; codeLenInByte = 1516
; TotalNumSgprs: 30
; NumVgprs: 12
; ScratchSize: 0
; MemoryBound: 0
; FloatMode: 240
; IeeeMode: 1
; LDSByteSize: 2048 bytes/workgroup (compile time only)
; SGPRBlocks: 3
; VGPRBlocks: 2
; NumSGPRsForWavesPerEU: 30
; NumVGPRsForWavesPerEU: 12
; Occupancy: 10
; WaveLimiterHint : 0
; COMPUTE_PGM_RSRC2:SCRATCH_EN: 0
; COMPUTE_PGM_RSRC2:USER_SGPR: 6
; COMPUTE_PGM_RSRC2:TRAP_HANDLER: 0
; COMPUTE_PGM_RSRC2:TGID_X_EN: 1
; COMPUTE_PGM_RSRC2:TGID_Y_EN: 0
; COMPUTE_PGM_RSRC2:TGID_Z_EN: 0
; COMPUTE_PGM_RSRC2:TIDIG_COMP_CNT: 0
	.section	.text._ZN9rocsparseL23sddmm_ell_sample_kernelILi16ELi32EdldEEvT2_S1_PKT3_lS1_PS2_PKS1_21rocsparse_index_base_,"axG",@progbits,_ZN9rocsparseL23sddmm_ell_sample_kernelILi16ELi32EdldEEvT2_S1_PKT3_lS1_PS2_PKS1_21rocsparse_index_base_,comdat
	.globl	_ZN9rocsparseL23sddmm_ell_sample_kernelILi16ELi32EdldEEvT2_S1_PKT3_lS1_PS2_PKS1_21rocsparse_index_base_ ; -- Begin function _ZN9rocsparseL23sddmm_ell_sample_kernelILi16ELi32EdldEEvT2_S1_PKT3_lS1_PS2_PKS1_21rocsparse_index_base_
	.p2align	8
	.type	_ZN9rocsparseL23sddmm_ell_sample_kernelILi16ELi32EdldEEvT2_S1_PKT3_lS1_PS2_PKS1_21rocsparse_index_base_,@function
_ZN9rocsparseL23sddmm_ell_sample_kernelILi16ELi32EdldEEvT2_S1_PKT3_lS1_PS2_PKS1_21rocsparse_index_base_: ; @_ZN9rocsparseL23sddmm_ell_sample_kernelILi16ELi32EdldEEvT2_S1_PKT3_lS1_PS2_PKS1_21rocsparse_index_base_
; %bb.0:
	s_load_dwordx4 s[0:3], s[4:5], 0x18
	v_lshrrev_b32_e32 v1, 5, v0
	v_lshl_or_b32 v2, s6, 4, v1
	v_mov_b32_e32 v1, 0
	v_mov_b32_e32 v3, v1
	s_waitcnt lgkmcnt(0)
	v_cmp_gt_i64_e32 vcc, s[2:3], v[2:3]
	s_and_saveexec_b64 s[2:3], vcc
	s_cbranch_execz .LBB42_6
; %bb.1:
	s_load_dwordx4 s[8:11], s[4:5], 0x0
	v_and_b32_e32 v0, 31, v0
	s_waitcnt lgkmcnt(0)
	v_cmp_gt_i64_e32 vcc, s[8:9], v[0:1]
	s_and_b64 exec, exec, vcc
	s_cbranch_execz .LBB42_6
; %bb.2:
	v_mad_u64_u32 v[3:4], s[2:3], s8, v2, v[0:1]
	s_load_dwordx4 s[12:15], s[4:5], 0x28
	s_load_dwordx2 s[16:17], s[4:5], 0x10
	s_load_dword s6, s[4:5], 0x38
	v_mad_u64_u32 v[4:5], s[2:3], s9, v2, v[4:5]
	s_lshl_b64 s[2:3], s[0:1], 3
	s_waitcnt lgkmcnt(0)
	v_mov_b32_e32 v6, s15
	v_lshlrev_b64 v[4:5], 3, v[3:4]
	v_mov_b32_e32 v7, s17
	v_add_co_u32_e32 v2, vcc, s14, v4
	v_addc_co_u32_e32 v3, vcc, v6, v5, vcc
	v_mov_b32_e32 v6, s13
	v_add_co_u32_e32 v4, vcc, s12, v4
	v_addc_co_u32_e32 v5, vcc, v6, v5, vcc
	v_lshlrev_b32_e32 v6, 3, v0
	v_add_co_u32_e32 v6, vcc, s16, v6
	v_addc_co_u32_e32 v7, vcc, 0, v7, vcc
	s_mov_b64 s[4:5], 0
	s_branch .LBB42_4
.LBB42_3:                               ;   in Loop: Header=BB42_4 Depth=1
	s_or_b64 exec, exec, s[0:1]
	v_add_co_u32_e32 v0, vcc, 32, v0
	v_addc_co_u32_e32 v1, vcc, 0, v1, vcc
	v_add_co_u32_e32 v2, vcc, 0x100, v2
	v_addc_co_u32_e32 v3, vcc, 0, v3, vcc
	;; [unrolled: 2-line block ×3, first 2 shown]
	v_cmp_le_i64_e64 s[0:1], s[8:9], v[0:1]
	v_add_co_u32_e32 v6, vcc, 0x100, v6
	s_or_b64 s[4:5], s[0:1], s[4:5]
	v_addc_co_u32_e32 v7, vcc, 0, v7, vcc
	s_andn2_b64 exec, exec, s[4:5]
	s_cbranch_execz .LBB42_6
.LBB42_4:                               ; =>This Inner Loop Header: Depth=1
	global_load_dwordx2 v[8:9], v[2:3], off
	s_waitcnt vmcnt(0)
	v_subrev_co_u32_e32 v8, vcc, s6, v8
	v_subbrev_co_u32_e32 v9, vcc, 0, v9, vcc
	v_cmp_lt_i64_e32 vcc, -1, v[8:9]
	v_cmp_gt_i64_e64 s[0:1], s[10:11], v[8:9]
	s_and_b64 s[12:13], vcc, s[0:1]
	s_and_saveexec_b64 s[0:1], s[12:13]
	s_cbranch_execz .LBB42_3
; %bb.5:                                ;   in Loop: Header=BB42_4 Depth=1
	v_mad_u64_u32 v[10:11], s[12:13], s2, v8, v[6:7]
	v_mul_lo_u32 v9, s2, v9
	v_mul_lo_u32 v8, s3, v8
	v_add3_u32 v11, v8, v11, v9
	global_load_dwordx2 v[8:9], v[10:11], off
	s_waitcnt vmcnt(0)
	global_store_dwordx2 v[4:5], v[8:9], off
	s_branch .LBB42_3
.LBB42_6:
	s_endpgm
	.section	.rodata,"a",@progbits
	.p2align	6, 0x0
	.amdhsa_kernel _ZN9rocsparseL23sddmm_ell_sample_kernelILi16ELi32EdldEEvT2_S1_PKT3_lS1_PS2_PKS1_21rocsparse_index_base_
		.amdhsa_group_segment_fixed_size 0
		.amdhsa_private_segment_fixed_size 0
		.amdhsa_kernarg_size 60
		.amdhsa_user_sgpr_count 6
		.amdhsa_user_sgpr_private_segment_buffer 1
		.amdhsa_user_sgpr_dispatch_ptr 0
		.amdhsa_user_sgpr_queue_ptr 0
		.amdhsa_user_sgpr_kernarg_segment_ptr 1
		.amdhsa_user_sgpr_dispatch_id 0
		.amdhsa_user_sgpr_flat_scratch_init 0
		.amdhsa_user_sgpr_private_segment_size 0
		.amdhsa_uses_dynamic_stack 0
		.amdhsa_system_sgpr_private_segment_wavefront_offset 0
		.amdhsa_system_sgpr_workgroup_id_x 1
		.amdhsa_system_sgpr_workgroup_id_y 0
		.amdhsa_system_sgpr_workgroup_id_z 0
		.amdhsa_system_sgpr_workgroup_info 0
		.amdhsa_system_vgpr_workitem_id 0
		.amdhsa_next_free_vgpr 12
		.amdhsa_next_free_sgpr 18
		.amdhsa_reserve_vcc 1
		.amdhsa_reserve_flat_scratch 0
		.amdhsa_float_round_mode_32 0
		.amdhsa_float_round_mode_16_64 0
		.amdhsa_float_denorm_mode_32 3
		.amdhsa_float_denorm_mode_16_64 3
		.amdhsa_dx10_clamp 1
		.amdhsa_ieee_mode 1
		.amdhsa_fp16_overflow 0
		.amdhsa_exception_fp_ieee_invalid_op 0
		.amdhsa_exception_fp_denorm_src 0
		.amdhsa_exception_fp_ieee_div_zero 0
		.amdhsa_exception_fp_ieee_overflow 0
		.amdhsa_exception_fp_ieee_underflow 0
		.amdhsa_exception_fp_ieee_inexact 0
		.amdhsa_exception_int_div_zero 0
	.end_amdhsa_kernel
	.section	.text._ZN9rocsparseL23sddmm_ell_sample_kernelILi16ELi32EdldEEvT2_S1_PKT3_lS1_PS2_PKS1_21rocsparse_index_base_,"axG",@progbits,_ZN9rocsparseL23sddmm_ell_sample_kernelILi16ELi32EdldEEvT2_S1_PKT3_lS1_PS2_PKS1_21rocsparse_index_base_,comdat
.Lfunc_end42:
	.size	_ZN9rocsparseL23sddmm_ell_sample_kernelILi16ELi32EdldEEvT2_S1_PKT3_lS1_PS2_PKS1_21rocsparse_index_base_, .Lfunc_end42-_ZN9rocsparseL23sddmm_ell_sample_kernelILi16ELi32EdldEEvT2_S1_PKT3_lS1_PS2_PKS1_21rocsparse_index_base_
                                        ; -- End function
	.set _ZN9rocsparseL23sddmm_ell_sample_kernelILi16ELi32EdldEEvT2_S1_PKT3_lS1_PS2_PKS1_21rocsparse_index_base_.num_vgpr, 12
	.set _ZN9rocsparseL23sddmm_ell_sample_kernelILi16ELi32EdldEEvT2_S1_PKT3_lS1_PS2_PKS1_21rocsparse_index_base_.num_agpr, 0
	.set _ZN9rocsparseL23sddmm_ell_sample_kernelILi16ELi32EdldEEvT2_S1_PKT3_lS1_PS2_PKS1_21rocsparse_index_base_.numbered_sgpr, 18
	.set _ZN9rocsparseL23sddmm_ell_sample_kernelILi16ELi32EdldEEvT2_S1_PKT3_lS1_PS2_PKS1_21rocsparse_index_base_.num_named_barrier, 0
	.set _ZN9rocsparseL23sddmm_ell_sample_kernelILi16ELi32EdldEEvT2_S1_PKT3_lS1_PS2_PKS1_21rocsparse_index_base_.private_seg_size, 0
	.set _ZN9rocsparseL23sddmm_ell_sample_kernelILi16ELi32EdldEEvT2_S1_PKT3_lS1_PS2_PKS1_21rocsparse_index_base_.uses_vcc, 1
	.set _ZN9rocsparseL23sddmm_ell_sample_kernelILi16ELi32EdldEEvT2_S1_PKT3_lS1_PS2_PKS1_21rocsparse_index_base_.uses_flat_scratch, 0
	.set _ZN9rocsparseL23sddmm_ell_sample_kernelILi16ELi32EdldEEvT2_S1_PKT3_lS1_PS2_PKS1_21rocsparse_index_base_.has_dyn_sized_stack, 0
	.set _ZN9rocsparseL23sddmm_ell_sample_kernelILi16ELi32EdldEEvT2_S1_PKT3_lS1_PS2_PKS1_21rocsparse_index_base_.has_recursion, 0
	.set _ZN9rocsparseL23sddmm_ell_sample_kernelILi16ELi32EdldEEvT2_S1_PKT3_lS1_PS2_PKS1_21rocsparse_index_base_.has_indirect_call, 0
	.section	.AMDGPU.csdata,"",@progbits
; Kernel info:
; codeLenInByte = 348
; TotalNumSgprs: 22
; NumVgprs: 12
; ScratchSize: 0
; MemoryBound: 0
; FloatMode: 240
; IeeeMode: 1
; LDSByteSize: 0 bytes/workgroup (compile time only)
; SGPRBlocks: 2
; VGPRBlocks: 2
; NumSGPRsForWavesPerEU: 22
; NumVGPRsForWavesPerEU: 12
; Occupancy: 10
; WaveLimiterHint : 1
; COMPUTE_PGM_RSRC2:SCRATCH_EN: 0
; COMPUTE_PGM_RSRC2:USER_SGPR: 6
; COMPUTE_PGM_RSRC2:TRAP_HANDLER: 0
; COMPUTE_PGM_RSRC2:TGID_X_EN: 1
; COMPUTE_PGM_RSRC2:TGID_Y_EN: 0
; COMPUTE_PGM_RSRC2:TGID_Z_EN: 0
; COMPUTE_PGM_RSRC2:TIDIG_COMP_CNT: 0
	.section	.text._ZN9rocsparseL23sddmm_ell_sample_kernelILi16ELi64EdldEEvT2_S1_PKT3_lS1_PS2_PKS1_21rocsparse_index_base_,"axG",@progbits,_ZN9rocsparseL23sddmm_ell_sample_kernelILi16ELi64EdldEEvT2_S1_PKT3_lS1_PS2_PKS1_21rocsparse_index_base_,comdat
	.globl	_ZN9rocsparseL23sddmm_ell_sample_kernelILi16ELi64EdldEEvT2_S1_PKT3_lS1_PS2_PKS1_21rocsparse_index_base_ ; -- Begin function _ZN9rocsparseL23sddmm_ell_sample_kernelILi16ELi64EdldEEvT2_S1_PKT3_lS1_PS2_PKS1_21rocsparse_index_base_
	.p2align	8
	.type	_ZN9rocsparseL23sddmm_ell_sample_kernelILi16ELi64EdldEEvT2_S1_PKT3_lS1_PS2_PKS1_21rocsparse_index_base_,@function
_ZN9rocsparseL23sddmm_ell_sample_kernelILi16ELi64EdldEEvT2_S1_PKT3_lS1_PS2_PKS1_21rocsparse_index_base_: ; @_ZN9rocsparseL23sddmm_ell_sample_kernelILi16ELi64EdldEEvT2_S1_PKT3_lS1_PS2_PKS1_21rocsparse_index_base_
; %bb.0:
	s_load_dwordx4 s[0:3], s[4:5], 0x18
	v_lshrrev_b32_e32 v1, 6, v0
	v_lshl_or_b32 v2, s6, 4, v1
	v_mov_b32_e32 v1, 0
	v_mov_b32_e32 v3, v1
	s_waitcnt lgkmcnt(0)
	v_cmp_gt_i64_e32 vcc, s[2:3], v[2:3]
	s_and_saveexec_b64 s[2:3], vcc
	s_cbranch_execz .LBB43_6
; %bb.1:
	s_load_dwordx4 s[8:11], s[4:5], 0x0
	v_and_b32_e32 v0, 63, v0
	s_waitcnt lgkmcnt(0)
	v_cmp_gt_i64_e32 vcc, s[8:9], v[0:1]
	s_and_b64 exec, exec, vcc
	s_cbranch_execz .LBB43_6
; %bb.2:
	v_mad_u64_u32 v[3:4], s[2:3], s8, v2, v[0:1]
	s_load_dwordx4 s[12:15], s[4:5], 0x28
	s_load_dwordx2 s[16:17], s[4:5], 0x10
	s_load_dword s6, s[4:5], 0x38
	v_mad_u64_u32 v[4:5], s[2:3], s9, v2, v[4:5]
	s_lshl_b64 s[2:3], s[0:1], 3
	s_waitcnt lgkmcnt(0)
	v_mov_b32_e32 v6, s15
	v_lshlrev_b64 v[4:5], 3, v[3:4]
	v_mov_b32_e32 v7, s17
	v_add_co_u32_e32 v2, vcc, s14, v4
	v_addc_co_u32_e32 v3, vcc, v6, v5, vcc
	v_mov_b32_e32 v6, s13
	v_add_co_u32_e32 v4, vcc, s12, v4
	v_addc_co_u32_e32 v5, vcc, v6, v5, vcc
	v_lshlrev_b32_e32 v6, 3, v0
	v_add_co_u32_e32 v6, vcc, s16, v6
	v_addc_co_u32_e32 v7, vcc, 0, v7, vcc
	s_mov_b64 s[4:5], 0
	s_branch .LBB43_4
.LBB43_3:                               ;   in Loop: Header=BB43_4 Depth=1
	s_or_b64 exec, exec, s[0:1]
	v_add_co_u32_e32 v0, vcc, 64, v0
	v_addc_co_u32_e32 v1, vcc, 0, v1, vcc
	v_add_co_u32_e32 v2, vcc, 0x200, v2
	v_addc_co_u32_e32 v3, vcc, 0, v3, vcc
	;; [unrolled: 2-line block ×3, first 2 shown]
	v_cmp_le_i64_e64 s[0:1], s[8:9], v[0:1]
	v_add_co_u32_e32 v6, vcc, 0x200, v6
	s_or_b64 s[4:5], s[0:1], s[4:5]
	v_addc_co_u32_e32 v7, vcc, 0, v7, vcc
	s_andn2_b64 exec, exec, s[4:5]
	s_cbranch_execz .LBB43_6
.LBB43_4:                               ; =>This Inner Loop Header: Depth=1
	global_load_dwordx2 v[8:9], v[2:3], off
	s_waitcnt vmcnt(0)
	v_subrev_co_u32_e32 v8, vcc, s6, v8
	v_subbrev_co_u32_e32 v9, vcc, 0, v9, vcc
	v_cmp_lt_i64_e32 vcc, -1, v[8:9]
	v_cmp_gt_i64_e64 s[0:1], s[10:11], v[8:9]
	s_and_b64 s[12:13], vcc, s[0:1]
	s_and_saveexec_b64 s[0:1], s[12:13]
	s_cbranch_execz .LBB43_3
; %bb.5:                                ;   in Loop: Header=BB43_4 Depth=1
	v_mad_u64_u32 v[10:11], s[12:13], s2, v8, v[6:7]
	v_mul_lo_u32 v9, s2, v9
	v_mul_lo_u32 v8, s3, v8
	v_add3_u32 v11, v8, v11, v9
	global_load_dwordx2 v[8:9], v[10:11], off
	s_waitcnt vmcnt(0)
	global_store_dwordx2 v[4:5], v[8:9], off
	s_branch .LBB43_3
.LBB43_6:
	s_endpgm
	.section	.rodata,"a",@progbits
	.p2align	6, 0x0
	.amdhsa_kernel _ZN9rocsparseL23sddmm_ell_sample_kernelILi16ELi64EdldEEvT2_S1_PKT3_lS1_PS2_PKS1_21rocsparse_index_base_
		.amdhsa_group_segment_fixed_size 0
		.amdhsa_private_segment_fixed_size 0
		.amdhsa_kernarg_size 60
		.amdhsa_user_sgpr_count 6
		.amdhsa_user_sgpr_private_segment_buffer 1
		.amdhsa_user_sgpr_dispatch_ptr 0
		.amdhsa_user_sgpr_queue_ptr 0
		.amdhsa_user_sgpr_kernarg_segment_ptr 1
		.amdhsa_user_sgpr_dispatch_id 0
		.amdhsa_user_sgpr_flat_scratch_init 0
		.amdhsa_user_sgpr_private_segment_size 0
		.amdhsa_uses_dynamic_stack 0
		.amdhsa_system_sgpr_private_segment_wavefront_offset 0
		.amdhsa_system_sgpr_workgroup_id_x 1
		.amdhsa_system_sgpr_workgroup_id_y 0
		.amdhsa_system_sgpr_workgroup_id_z 0
		.amdhsa_system_sgpr_workgroup_info 0
		.amdhsa_system_vgpr_workitem_id 0
		.amdhsa_next_free_vgpr 12
		.amdhsa_next_free_sgpr 18
		.amdhsa_reserve_vcc 1
		.amdhsa_reserve_flat_scratch 0
		.amdhsa_float_round_mode_32 0
		.amdhsa_float_round_mode_16_64 0
		.amdhsa_float_denorm_mode_32 3
		.amdhsa_float_denorm_mode_16_64 3
		.amdhsa_dx10_clamp 1
		.amdhsa_ieee_mode 1
		.amdhsa_fp16_overflow 0
		.amdhsa_exception_fp_ieee_invalid_op 0
		.amdhsa_exception_fp_denorm_src 0
		.amdhsa_exception_fp_ieee_div_zero 0
		.amdhsa_exception_fp_ieee_overflow 0
		.amdhsa_exception_fp_ieee_underflow 0
		.amdhsa_exception_fp_ieee_inexact 0
		.amdhsa_exception_int_div_zero 0
	.end_amdhsa_kernel
	.section	.text._ZN9rocsparseL23sddmm_ell_sample_kernelILi16ELi64EdldEEvT2_S1_PKT3_lS1_PS2_PKS1_21rocsparse_index_base_,"axG",@progbits,_ZN9rocsparseL23sddmm_ell_sample_kernelILi16ELi64EdldEEvT2_S1_PKT3_lS1_PS2_PKS1_21rocsparse_index_base_,comdat
.Lfunc_end43:
	.size	_ZN9rocsparseL23sddmm_ell_sample_kernelILi16ELi64EdldEEvT2_S1_PKT3_lS1_PS2_PKS1_21rocsparse_index_base_, .Lfunc_end43-_ZN9rocsparseL23sddmm_ell_sample_kernelILi16ELi64EdldEEvT2_S1_PKT3_lS1_PS2_PKS1_21rocsparse_index_base_
                                        ; -- End function
	.set _ZN9rocsparseL23sddmm_ell_sample_kernelILi16ELi64EdldEEvT2_S1_PKT3_lS1_PS2_PKS1_21rocsparse_index_base_.num_vgpr, 12
	.set _ZN9rocsparseL23sddmm_ell_sample_kernelILi16ELi64EdldEEvT2_S1_PKT3_lS1_PS2_PKS1_21rocsparse_index_base_.num_agpr, 0
	.set _ZN9rocsparseL23sddmm_ell_sample_kernelILi16ELi64EdldEEvT2_S1_PKT3_lS1_PS2_PKS1_21rocsparse_index_base_.numbered_sgpr, 18
	.set _ZN9rocsparseL23sddmm_ell_sample_kernelILi16ELi64EdldEEvT2_S1_PKT3_lS1_PS2_PKS1_21rocsparse_index_base_.num_named_barrier, 0
	.set _ZN9rocsparseL23sddmm_ell_sample_kernelILi16ELi64EdldEEvT2_S1_PKT3_lS1_PS2_PKS1_21rocsparse_index_base_.private_seg_size, 0
	.set _ZN9rocsparseL23sddmm_ell_sample_kernelILi16ELi64EdldEEvT2_S1_PKT3_lS1_PS2_PKS1_21rocsparse_index_base_.uses_vcc, 1
	.set _ZN9rocsparseL23sddmm_ell_sample_kernelILi16ELi64EdldEEvT2_S1_PKT3_lS1_PS2_PKS1_21rocsparse_index_base_.uses_flat_scratch, 0
	.set _ZN9rocsparseL23sddmm_ell_sample_kernelILi16ELi64EdldEEvT2_S1_PKT3_lS1_PS2_PKS1_21rocsparse_index_base_.has_dyn_sized_stack, 0
	.set _ZN9rocsparseL23sddmm_ell_sample_kernelILi16ELi64EdldEEvT2_S1_PKT3_lS1_PS2_PKS1_21rocsparse_index_base_.has_recursion, 0
	.set _ZN9rocsparseL23sddmm_ell_sample_kernelILi16ELi64EdldEEvT2_S1_PKT3_lS1_PS2_PKS1_21rocsparse_index_base_.has_indirect_call, 0
	.section	.AMDGPU.csdata,"",@progbits
; Kernel info:
; codeLenInByte = 348
; TotalNumSgprs: 22
; NumVgprs: 12
; ScratchSize: 0
; MemoryBound: 0
; FloatMode: 240
; IeeeMode: 1
; LDSByteSize: 0 bytes/workgroup (compile time only)
; SGPRBlocks: 2
; VGPRBlocks: 2
; NumSGPRsForWavesPerEU: 22
; NumVGPRsForWavesPerEU: 12
; Occupancy: 10
; WaveLimiterHint : 1
; COMPUTE_PGM_RSRC2:SCRATCH_EN: 0
; COMPUTE_PGM_RSRC2:USER_SGPR: 6
; COMPUTE_PGM_RSRC2:TRAP_HANDLER: 0
; COMPUTE_PGM_RSRC2:TGID_X_EN: 1
; COMPUTE_PGM_RSRC2:TGID_Y_EN: 0
; COMPUTE_PGM_RSRC2:TGID_Z_EN: 0
; COMPUTE_PGM_RSRC2:TIDIG_COMP_CNT: 0
	.section	.text._ZN9rocsparseL16sddmm_ell_kernelILi512ELi8EdlldddEEv20rocsparse_operation_S1_16rocsparse_order_S2_T3_S3_S3_T2_NS_24const_host_device_scalarIT1_EEPKT4_lPKT5_lS7_PT6_PKS3_21rocsparse_index_base_b,"axG",@progbits,_ZN9rocsparseL16sddmm_ell_kernelILi512ELi8EdlldddEEv20rocsparse_operation_S1_16rocsparse_order_S2_T3_S3_S3_T2_NS_24const_host_device_scalarIT1_EEPKT4_lPKT5_lS7_PT6_PKS3_21rocsparse_index_base_b,comdat
	.globl	_ZN9rocsparseL16sddmm_ell_kernelILi512ELi8EdlldddEEv20rocsparse_operation_S1_16rocsparse_order_S2_T3_S3_S3_T2_NS_24const_host_device_scalarIT1_EEPKT4_lPKT5_lS7_PT6_PKS3_21rocsparse_index_base_b ; -- Begin function _ZN9rocsparseL16sddmm_ell_kernelILi512ELi8EdlldddEEv20rocsparse_operation_S1_16rocsparse_order_S2_T3_S3_S3_T2_NS_24const_host_device_scalarIT1_EEPKT4_lPKT5_lS7_PT6_PKS3_21rocsparse_index_base_b
	.p2align	8
	.type	_ZN9rocsparseL16sddmm_ell_kernelILi512ELi8EdlldddEEv20rocsparse_operation_S1_16rocsparse_order_S2_T3_S3_S3_T2_NS_24const_host_device_scalarIT1_EEPKT4_lPKT5_lS7_PT6_PKS3_21rocsparse_index_base_b,@function
_ZN9rocsparseL16sddmm_ell_kernelILi512ELi8EdlldddEEv20rocsparse_operation_S1_16rocsparse_order_S2_T3_S3_S3_T2_NS_24const_host_device_scalarIT1_EEPKT4_lPKT5_lS7_PT6_PKS3_21rocsparse_index_base_b: ; @_ZN9rocsparseL16sddmm_ell_kernelILi512ELi8EdlldddEEv20rocsparse_operation_S1_16rocsparse_order_S2_T3_S3_S3_T2_NS_24const_host_device_scalarIT1_EEPKT4_lPKT5_lS7_PT6_PKS3_21rocsparse_index_base_b
; %bb.0:
	s_load_dwordx2 s[16:17], s[4:5], 0x70
	s_load_dwordx2 s[2:3], s[4:5], 0x30
	s_load_dwordx4 s[12:15], s[4:5], 0x50
	s_waitcnt lgkmcnt(0)
	s_bitcmp1_b32 s17, 0
	s_cselect_b64 s[8:9], -1, 0
	v_mov_b32_e32 v1, s2
	s_xor_b64 s[0:1], s[8:9], -1
	s_and_b64 vcc, exec, s[8:9]
	v_mov_b32_e32 v2, s3
	s_cbranch_vccnz .LBB44_2
; %bb.1:
	v_mov_b32_e32 v1, s2
	v_mov_b32_e32 v2, s3
	flat_load_dwordx2 v[1:2], v[1:2]
.LBB44_2:
	v_mov_b32_e32 v3, s14
	s_andn2_b64 vcc, exec, s[0:1]
	v_mov_b32_e32 v4, s15
	s_cbranch_vccnz .LBB44_4
; %bb.3:
	v_mov_b32_e32 v3, s14
	v_mov_b32_e32 v4, s15
	flat_load_dwordx2 v[3:4], v[3:4]
.LBB44_4:
	s_waitcnt vmcnt(0) lgkmcnt(0)
	v_cmp_neq_f64_e32 vcc, 0, v[1:2]
	v_cmp_neq_f64_e64 s[0:1], 1.0, v[3:4]
	s_or_b64 s[0:1], vcc, s[0:1]
	s_and_saveexec_b64 s[2:3], s[0:1]
	s_cbranch_execz .LBB44_39
; %bb.5:
	s_load_dwordx4 s[8:11], s[4:5], 0x20
	v_lshrrev_b32_e32 v17, 3, v0
	v_lshl_or_b32 v5, s6, 6, v17
	v_mov_b32_e32 v6, 0
	s_waitcnt lgkmcnt(0)
	v_cmp_gt_i64_e32 vcc, s[10:11], v[5:6]
	s_and_b64 exec, exec, vcc
	s_cbranch_execz .LBB44_39
; %bb.6:
	s_load_dwordx2 s[10:11], s[4:5], 0x10
	s_load_dwordx2 s[6:7], s[4:5], 0x68
	s_mov_b32 s0, 0
                                        ; implicit-def: $vgpr11_vgpr12
	s_waitcnt lgkmcnt(0)
	s_mov_b32 s1, s11
	s_cmp_lg_u64 s[0:1], 0
	s_cselect_b64 s[0:1], -1, 0
	s_and_saveexec_b64 s[2:3], s[0:1]
	s_xor_b64 s[14:15], exec, s[2:3]
	s_cbranch_execz .LBB44_8
; %bb.7:
	s_ashr_i32 s0, s11, 31
	s_add_u32 s2, s10, s0
	s_mov_b32 s1, s0
	s_addc_u32 s3, s11, s0
	s_xor_b64 s[18:19], s[2:3], s[0:1]
	v_cvt_f32_u32_e32 v7, s18
	v_cvt_f32_u32_e32 v8, s19
	s_sub_u32 s2, 0, s18
	s_subb_u32 s3, 0, s19
	v_add_co_u32_e32 v11, vcc, 0, v5
	v_madmk_f32 v7, v8, 0x4f800000, v7
	v_rcp_f32_e32 v7, v7
	v_mul_f32_e32 v7, 0x5f7ffffc, v7
	v_mul_f32_e32 v8, 0x2f800000, v7
	v_trunc_f32_e32 v8, v8
	v_madmk_f32 v7, v8, 0xcf800000, v7
	v_cvt_u32_f32_e32 v8, v8
	v_cvt_u32_f32_e32 v7, v7
	v_readfirstlane_b32 s11, v8
	v_readfirstlane_b32 s0, v7
	s_mul_i32 s1, s2, s11
	s_mul_hi_u32 s20, s2, s0
	s_mul_i32 s17, s3, s0
	s_add_i32 s1, s20, s1
	s_add_i32 s1, s1, s17
	s_mul_i32 s21, s2, s0
	s_mul_i32 s20, s0, s1
	s_mul_hi_u32 s22, s0, s21
	s_mul_hi_u32 s17, s0, s1
	s_add_u32 s20, s22, s20
	s_addc_u32 s17, 0, s17
	s_mul_hi_u32 s23, s11, s21
	s_mul_i32 s21, s11, s21
	s_add_u32 s20, s20, s21
	s_mul_hi_u32 s22, s11, s1
	s_addc_u32 s17, s17, s23
	s_addc_u32 s20, s22, 0
	s_mul_i32 s1, s11, s1
	s_add_u32 s1, s17, s1
	s_addc_u32 s17, 0, s20
	s_add_u32 s20, s0, s1
	s_cselect_b64 s[0:1], -1, 0
	s_cmp_lg_u64 s[0:1], 0
	s_addc_u32 s11, s11, s17
	s_mul_i32 s0, s2, s11
	s_mul_hi_u32 s1, s2, s20
	s_add_i32 s0, s1, s0
	s_mul_i32 s3, s3, s20
	s_add_i32 s0, s0, s3
	s_mul_i32 s2, s2, s20
	s_mul_hi_u32 s3, s11, s2
	s_mul_i32 s17, s11, s2
	s_mul_i32 s22, s20, s0
	s_mul_hi_u32 s2, s20, s2
	s_mul_hi_u32 s21, s20, s0
	s_add_u32 s2, s2, s22
	s_addc_u32 s21, 0, s21
	s_add_u32 s2, s2, s17
	s_mul_hi_u32 s1, s11, s0
	s_addc_u32 s2, s21, s3
	s_addc_u32 s1, s1, 0
	s_mul_i32 s0, s11, s0
	s_add_u32 s0, s2, s0
	s_addc_u32 s2, 0, s1
	s_add_u32 s3, s20, s0
	s_cselect_b64 s[0:1], -1, 0
	s_cmp_lg_u64 s[0:1], 0
	s_addc_u32 s2, s11, s2
	v_mad_u64_u32 v[7:8], s[0:1], v11, s2, 0
	v_mul_hi_u32 v9, v11, s3
	v_addc_co_u32_e64 v12, s[0:1], 0, 0, vcc
	v_add_co_u32_e32 v13, vcc, v9, v7
	v_addc_co_u32_e32 v14, vcc, 0, v8, vcc
	v_mad_u64_u32 v[7:8], s[0:1], v12, s3, 0
	v_mad_u64_u32 v[9:10], s[0:1], v12, s2, 0
	v_add_co_u32_e32 v7, vcc, v13, v7
	v_addc_co_u32_e32 v7, vcc, v14, v8, vcc
	v_addc_co_u32_e32 v8, vcc, 0, v10, vcc
	v_add_co_u32_e32 v7, vcc, v7, v9
	v_addc_co_u32_e32 v8, vcc, 0, v8, vcc
	v_mul_lo_u32 v9, s19, v7
	v_mul_lo_u32 v10, s18, v8
	v_mad_u64_u32 v[7:8], s[0:1], s18, v7, 0
	v_add3_u32 v8, v8, v10, v9
	v_sub_u32_e32 v9, v12, v8
	v_mov_b32_e32 v10, s19
	v_sub_co_u32_e32 v7, vcc, v11, v7
	v_subb_co_u32_e64 v9, s[0:1], v9, v10, vcc
	v_subrev_co_u32_e64 v11, s[0:1], s18, v7
	v_subbrev_co_u32_e64 v13, s[2:3], 0, v9, s[0:1]
	v_cmp_le_u32_e64 s[2:3], s19, v13
	v_cndmask_b32_e64 v14, 0, -1, s[2:3]
	v_cmp_le_u32_e64 s[2:3], s18, v11
	v_subb_co_u32_e64 v9, s[0:1], v9, v10, s[0:1]
	v_cndmask_b32_e64 v15, 0, -1, s[2:3]
	v_cmp_eq_u32_e64 s[2:3], s19, v13
	v_subrev_co_u32_e64 v10, s[0:1], s18, v11
	v_subb_co_u32_e32 v8, vcc, v12, v8, vcc
	v_cndmask_b32_e64 v14, v14, v15, s[2:3]
	v_subbrev_co_u32_e64 v9, s[0:1], 0, v9, s[0:1]
	v_cmp_le_u32_e32 vcc, s19, v8
	v_cmp_ne_u32_e64 s[0:1], 0, v14
	v_cndmask_b32_e64 v12, 0, -1, vcc
	v_cmp_le_u32_e32 vcc, s18, v7
	v_cndmask_b32_e64 v9, v13, v9, s[0:1]
	v_cndmask_b32_e64 v13, 0, -1, vcc
	v_cmp_eq_u32_e32 vcc, s19, v8
	v_cndmask_b32_e32 v12, v12, v13, vcc
	v_cmp_ne_u32_e32 vcc, 0, v12
	v_cndmask_b32_e32 v8, v8, v9, vcc
	v_cndmask_b32_e64 v9, v11, v10, s[0:1]
	v_cndmask_b32_e32 v7, v7, v9, vcc
	v_subrev_co_u32_e32 v11, vcc, 0, v7
	v_subbrev_co_u32_e32 v12, vcc, 0, v8, vcc
.LBB44_8:
	s_andn2_saveexec_b64 s[0:1], s[14:15]
	s_cbranch_execz .LBB44_10
; %bb.9:
	v_cvt_f32_u32_e32 v7, s10
	s_sub_i32 s2, 0, s10
	v_mov_b32_e32 v12, 0
	v_rcp_iflag_f32_e32 v7, v7
	v_mul_f32_e32 v7, 0x4f7ffffe, v7
	v_cvt_u32_f32_e32 v7, v7
	v_mul_lo_u32 v8, s2, v7
	v_mul_hi_u32 v8, v7, v8
	v_add_u32_e32 v7, v7, v8
	v_mul_hi_u32 v7, v5, v7
	v_mul_lo_u32 v7, v7, s10
	v_sub_u32_e32 v7, v5, v7
	v_subrev_u32_e32 v8, s10, v7
	v_cmp_le_u32_e32 vcc, s10, v7
	v_cndmask_b32_e32 v7, v7, v8, vcc
	v_subrev_u32_e32 v8, s10, v7
	v_cmp_le_u32_e32 vcc, s10, v7
	v_cndmask_b32_e32 v11, v7, v8, vcc
.LBB44_10:
	s_or_b64 exec, exec, s[0:1]
	v_lshlrev_b64 v[5:6], 3, v[5:6]
	v_mov_b32_e32 v8, s7
	v_add_co_u32_e32 v7, vcc, s6, v5
	v_addc_co_u32_e32 v8, vcc, v8, v6, vcc
	global_load_dwordx2 v[7:8], v[7:8], off
	s_mov_b64 s[18:19], -1
	s_waitcnt vmcnt(0)
	v_subrev_co_u32_e32 v7, vcc, s16, v7
	v_subbrev_co_u32_e32 v8, vcc, 0, v8, vcc
	v_cmp_lt_i64_e32 vcc, -1, v[7:8]
	s_and_b64 exec, exec, vcc
	s_cbranch_execz .LBB44_39
; %bb.11:
	s_load_dwordx4 s[0:3], s[4:5], 0x0
	s_load_dwordx2 s[6:7], s[4:5], 0x40
                                        ; implicit-def: $vgpr9_vgpr10
	s_waitcnt lgkmcnt(0)
	s_cmp_eq_u32 s2, 1
	s_cselect_b64 s[10:11], -1, 0
	s_cmpk_eq_i32 s0, 0x6f
	s_cselect_b64 s[14:15], -1, 0
	s_cmpk_lg_i32 s0, 0x6f
	s_cselect_b64 s[16:17], -1, 0
	s_cmp_lg_u32 s2, 1
	s_cbranch_scc0 .LBB44_15
; %bb.12:
	v_mov_b32_e32 v9, v11
	s_andn2_b64 vcc, exec, s[14:15]
	v_mov_b32_e32 v10, v12
	s_cbranch_vccnz .LBB44_14
; %bb.13:
	v_mul_lo_u32 v13, v12, s6
	v_mul_lo_u32 v14, v11, s7
	v_mad_u64_u32 v[9:10], s[18:19], v11, s6, 0
	v_add3_u32 v10, v10, v14, v13
.LBB44_14:
	s_mov_b64 s[18:19], 0
.LBB44_15:
	s_andn2_b64 vcc, exec, s[18:19]
	s_cbranch_vccnz .LBB44_19
; %bb.16:
	s_andn2_b64 vcc, exec, s[16:17]
	s_cbranch_vccnz .LBB44_18
; %bb.17:
	v_mul_lo_u32 v9, v12, s6
	v_mul_lo_u32 v10, v11, s7
	v_mad_u64_u32 v[11:12], s[16:17], v11, s6, 0
	v_add3_u32 v12, v12, v10, v9
.LBB44_18:
	v_mov_b32_e32 v9, v11
	v_mov_b32_e32 v10, v12
.LBB44_19:
	s_cmp_eq_u32 s3, 1
	s_cselect_b64 s[18:19], -1, 0
	s_cmpk_eq_i32 s1, 0x6f
	s_cselect_b64 s[20:21], -1, 0
	s_cmpk_lg_i32 s1, 0x6f
	s_cselect_b64 s[0:1], -1, 0
	s_cmp_lg_u32 s3, 1
	s_cbranch_scc0 .LBB44_23
; %bb.20:
	v_mov_b32_e32 v12, v8
	s_andn2_b64 vcc, exec, s[0:1]
	v_mov_b32_e32 v11, v7
	s_cbranch_vccnz .LBB44_22
; %bb.21:
	v_mul_lo_u32 v13, v8, s12
	v_mul_lo_u32 v14, v7, s13
	v_mad_u64_u32 v[11:12], s[0:1], v7, s12, 0
	v_add3_u32 v12, v12, v14, v13
.LBB44_22:
	s_cbranch_execz .LBB44_24
	s_branch .LBB44_27
.LBB44_23:
                                        ; implicit-def: $vgpr11_vgpr12
.LBB44_24:
	s_andn2_b64 vcc, exec, s[20:21]
	s_cbranch_vccnz .LBB44_26
; %bb.25:
	v_mul_lo_u32 v11, v8, s12
	v_mul_lo_u32 v12, v7, s13
	v_mad_u64_u32 v[7:8], s[0:1], v7, s12, 0
	v_add3_u32 v8, v8, v12, v11
.LBB44_26:
	v_mov_b32_e32 v12, v8
	v_mov_b32_e32 v11, v7
.LBB44_27:
	s_load_dwordx2 s[2:3], s[4:5], 0x60
	v_and_b32_e32 v7, 7, v0
	v_mov_b32_e32 v8, 0
	v_cmp_gt_i64_e32 vcc, s[8:9], v[7:8]
	v_mov_b32_e32 v13, 0
	v_mov_b32_e32 v14, 0
	s_and_saveexec_b64 s[16:17], vcc
	s_cbranch_execz .LBB44_31
; %bb.28:
	s_xor_b64 s[0:1], s[14:15], s[10:11]
	s_and_b64 s[0:1], s[0:1], exec
	s_cselect_b32 s1, 0, s7
	s_cselect_b32 s0, 1, s6
	s_xor_b64 s[6:7], s[20:21], s[18:19]
	s_and_b64 s[6:7], s[6:7], exec
	s_cselect_b32 s6, s12, 1
	v_mad_u64_u32 v[13:14], s[10:11], s6, v7, 0
	s_cselect_b32 s7, s13, 0
	v_lshlrev_b64 v[11:12], 3, v[11:12]
	v_mov_b32_e32 v0, v14
	v_mad_u64_u32 v[14:15], s[10:11], s7, v7, v[0:1]
	s_load_dwordx2 s[10:11], s[4:5], 0x38
	s_load_dwordx2 s[12:13], s[4:5], 0x48
	v_mad_u64_u32 v[15:16], s[4:5], s0, v7, 0
	v_lshlrev_b64 v[13:14], 3, v[13:14]
	v_lshlrev_b64 v[9:10], 3, v[9:10]
	v_add_co_u32_e32 v11, vcc, v13, v11
	v_mov_b32_e32 v0, v16
	v_addc_co_u32_e32 v12, vcc, v14, v12, vcc
	v_mad_u64_u32 v[13:14], s[4:5], s1, v7, v[0:1]
	s_waitcnt lgkmcnt(0)
	v_mov_b32_e32 v18, s13
	v_add_co_u32_e32 v11, vcc, s12, v11
	v_mov_b32_e32 v16, v13
	v_lshlrev_b64 v[13:14], 3, v[15:16]
	v_addc_co_u32_e32 v12, vcc, v18, v12, vcc
	v_add_co_u32_e32 v0, vcc, v13, v9
	v_addc_co_u32_e32 v10, vcc, v14, v10, vcc
	v_mov_b32_e32 v13, s11
	v_add_co_u32_e32 v9, vcc, s10, v0
	s_lshl_b64 s[4:5], s[6:7], 6
	v_addc_co_u32_e32 v10, vcc, v13, v10, vcc
	s_lshl_b64 s[6:7], s[0:1], 6
	v_mov_b32_e32 v13, 0
	v_mov_b32_e32 v16, v8
	;; [unrolled: 1-line block ×3, first 2 shown]
	s_mov_b64 s[10:11], 0
	v_mov_b32_e32 v0, s5
	v_mov_b32_e32 v18, s7
	;; [unrolled: 1-line block ×3, first 2 shown]
.LBB44_29:                              ; =>This Inner Loop Header: Depth=1
	global_load_dwordx2 v[19:20], v[9:10], off
	global_load_dwordx2 v[21:22], v[11:12], off
	v_add_co_u32_e32 v15, vcc, 8, v15
	v_addc_co_u32_e32 v16, vcc, 0, v16, vcc
	v_add_co_u32_e32 v11, vcc, s4, v11
	v_addc_co_u32_e32 v12, vcc, v12, v0, vcc
	v_cmp_le_i64_e64 s[0:1], s[8:9], v[15:16]
	v_add_co_u32_e32 v9, vcc, s6, v9
	s_or_b64 s[10:11], s[0:1], s[10:11]
	v_addc_co_u32_e32 v10, vcc, v10, v18, vcc
	s_waitcnt vmcnt(0)
	v_fma_f64 v[13:14], v[19:20], v[21:22], v[13:14]
	s_andn2_b64 exec, exec, s[10:11]
	s_cbranch_execnz .LBB44_29
; %bb.30:
	s_or_b64 exec, exec, s[10:11]
.LBB44_31:
	s_or_b64 exec, exec, s[16:17]
	v_lshlrev_b32_e32 v0, 6, v17
	v_lshl_or_b32 v8, v7, 3, v0
	v_cmp_gt_u32_e32 vcc, 4, v7
	ds_write_b64 v8, v[13:14]
	s_waitcnt lgkmcnt(0)
	s_barrier
	s_and_saveexec_b64 s[0:1], vcc
	s_cbranch_execz .LBB44_33
; %bb.32:
	ds_read2_b64 v[9:12], v8 offset1:4
	s_waitcnt lgkmcnt(0)
	v_add_f64 v[9:10], v[11:12], v[9:10]
	ds_write_b64 v8, v[9:10]
.LBB44_33:
	s_or_b64 exec, exec, s[0:1]
	v_cmp_gt_u32_e32 vcc, 2, v7
	s_waitcnt lgkmcnt(0)
	s_barrier
	s_and_saveexec_b64 s[0:1], vcc
	s_cbranch_execz .LBB44_35
; %bb.34:
	ds_read2_b64 v[9:12], v8 offset1:2
	s_waitcnt lgkmcnt(0)
	v_add_f64 v[9:10], v[11:12], v[9:10]
	ds_write_b64 v8, v[9:10]
.LBB44_35:
	s_or_b64 exec, exec, s[0:1]
	v_cmp_eq_u32_e32 vcc, 0, v7
	s_waitcnt lgkmcnt(0)
	s_barrier
	s_and_saveexec_b64 s[0:1], vcc
	s_cbranch_execz .LBB44_37
; %bb.36:
	ds_read2_b64 v[9:12], v8 offset1:1
	s_waitcnt lgkmcnt(0)
	v_add_f64 v[9:10], v[11:12], v[9:10]
	ds_write_b64 v8, v[9:10]
.LBB44_37:
	s_or_b64 exec, exec, s[0:1]
	s_waitcnt lgkmcnt(0)
	s_barrier
	s_and_b64 exec, exec, vcc
	s_cbranch_execz .LBB44_39
; %bb.38:
	v_mov_b32_e32 v7, s3
	v_add_co_u32_e32 v5, vcc, s2, v5
	v_addc_co_u32_e32 v6, vcc, v7, v6, vcc
	global_load_dwordx2 v[7:8], v[5:6], off
	ds_read_b64 v[9:10], v0
	s_waitcnt lgkmcnt(0)
	v_mul_f64 v[0:1], v[1:2], v[9:10]
	s_waitcnt vmcnt(0)
	v_fma_f64 v[0:1], v[3:4], v[7:8], v[0:1]
	global_store_dwordx2 v[5:6], v[0:1], off
.LBB44_39:
	s_endpgm
	.section	.rodata,"a",@progbits
	.p2align	6, 0x0
	.amdhsa_kernel _ZN9rocsparseL16sddmm_ell_kernelILi512ELi8EdlldddEEv20rocsparse_operation_S1_16rocsparse_order_S2_T3_S3_S3_T2_NS_24const_host_device_scalarIT1_EEPKT4_lPKT5_lS7_PT6_PKS3_21rocsparse_index_base_b
		.amdhsa_group_segment_fixed_size 4096
		.amdhsa_private_segment_fixed_size 0
		.amdhsa_kernarg_size 120
		.amdhsa_user_sgpr_count 6
		.amdhsa_user_sgpr_private_segment_buffer 1
		.amdhsa_user_sgpr_dispatch_ptr 0
		.amdhsa_user_sgpr_queue_ptr 0
		.amdhsa_user_sgpr_kernarg_segment_ptr 1
		.amdhsa_user_sgpr_dispatch_id 0
		.amdhsa_user_sgpr_flat_scratch_init 0
		.amdhsa_user_sgpr_private_segment_size 0
		.amdhsa_uses_dynamic_stack 0
		.amdhsa_system_sgpr_private_segment_wavefront_offset 0
		.amdhsa_system_sgpr_workgroup_id_x 1
		.amdhsa_system_sgpr_workgroup_id_y 0
		.amdhsa_system_sgpr_workgroup_id_z 0
		.amdhsa_system_sgpr_workgroup_info 0
		.amdhsa_system_vgpr_workitem_id 0
		.amdhsa_next_free_vgpr 23
		.amdhsa_next_free_sgpr 24
		.amdhsa_reserve_vcc 1
		.amdhsa_reserve_flat_scratch 0
		.amdhsa_float_round_mode_32 0
		.amdhsa_float_round_mode_16_64 0
		.amdhsa_float_denorm_mode_32 3
		.amdhsa_float_denorm_mode_16_64 3
		.amdhsa_dx10_clamp 1
		.amdhsa_ieee_mode 1
		.amdhsa_fp16_overflow 0
		.amdhsa_exception_fp_ieee_invalid_op 0
		.amdhsa_exception_fp_denorm_src 0
		.amdhsa_exception_fp_ieee_div_zero 0
		.amdhsa_exception_fp_ieee_overflow 0
		.amdhsa_exception_fp_ieee_underflow 0
		.amdhsa_exception_fp_ieee_inexact 0
		.amdhsa_exception_int_div_zero 0
	.end_amdhsa_kernel
	.section	.text._ZN9rocsparseL16sddmm_ell_kernelILi512ELi8EdlldddEEv20rocsparse_operation_S1_16rocsparse_order_S2_T3_S3_S3_T2_NS_24const_host_device_scalarIT1_EEPKT4_lPKT5_lS7_PT6_PKS3_21rocsparse_index_base_b,"axG",@progbits,_ZN9rocsparseL16sddmm_ell_kernelILi512ELi8EdlldddEEv20rocsparse_operation_S1_16rocsparse_order_S2_T3_S3_S3_T2_NS_24const_host_device_scalarIT1_EEPKT4_lPKT5_lS7_PT6_PKS3_21rocsparse_index_base_b,comdat
.Lfunc_end44:
	.size	_ZN9rocsparseL16sddmm_ell_kernelILi512ELi8EdlldddEEv20rocsparse_operation_S1_16rocsparse_order_S2_T3_S3_S3_T2_NS_24const_host_device_scalarIT1_EEPKT4_lPKT5_lS7_PT6_PKS3_21rocsparse_index_base_b, .Lfunc_end44-_ZN9rocsparseL16sddmm_ell_kernelILi512ELi8EdlldddEEv20rocsparse_operation_S1_16rocsparse_order_S2_T3_S3_S3_T2_NS_24const_host_device_scalarIT1_EEPKT4_lPKT5_lS7_PT6_PKS3_21rocsparse_index_base_b
                                        ; -- End function
	.set _ZN9rocsparseL16sddmm_ell_kernelILi512ELi8EdlldddEEv20rocsparse_operation_S1_16rocsparse_order_S2_T3_S3_S3_T2_NS_24const_host_device_scalarIT1_EEPKT4_lPKT5_lS7_PT6_PKS3_21rocsparse_index_base_b.num_vgpr, 23
	.set _ZN9rocsparseL16sddmm_ell_kernelILi512ELi8EdlldddEEv20rocsparse_operation_S1_16rocsparse_order_S2_T3_S3_S3_T2_NS_24const_host_device_scalarIT1_EEPKT4_lPKT5_lS7_PT6_PKS3_21rocsparse_index_base_b.num_agpr, 0
	.set _ZN9rocsparseL16sddmm_ell_kernelILi512ELi8EdlldddEEv20rocsparse_operation_S1_16rocsparse_order_S2_T3_S3_S3_T2_NS_24const_host_device_scalarIT1_EEPKT4_lPKT5_lS7_PT6_PKS3_21rocsparse_index_base_b.numbered_sgpr, 24
	.set _ZN9rocsparseL16sddmm_ell_kernelILi512ELi8EdlldddEEv20rocsparse_operation_S1_16rocsparse_order_S2_T3_S3_S3_T2_NS_24const_host_device_scalarIT1_EEPKT4_lPKT5_lS7_PT6_PKS3_21rocsparse_index_base_b.num_named_barrier, 0
	.set _ZN9rocsparseL16sddmm_ell_kernelILi512ELi8EdlldddEEv20rocsparse_operation_S1_16rocsparse_order_S2_T3_S3_S3_T2_NS_24const_host_device_scalarIT1_EEPKT4_lPKT5_lS7_PT6_PKS3_21rocsparse_index_base_b.private_seg_size, 0
	.set _ZN9rocsparseL16sddmm_ell_kernelILi512ELi8EdlldddEEv20rocsparse_operation_S1_16rocsparse_order_S2_T3_S3_S3_T2_NS_24const_host_device_scalarIT1_EEPKT4_lPKT5_lS7_PT6_PKS3_21rocsparse_index_base_b.uses_vcc, 1
	.set _ZN9rocsparseL16sddmm_ell_kernelILi512ELi8EdlldddEEv20rocsparse_operation_S1_16rocsparse_order_S2_T3_S3_S3_T2_NS_24const_host_device_scalarIT1_EEPKT4_lPKT5_lS7_PT6_PKS3_21rocsparse_index_base_b.uses_flat_scratch, 0
	.set _ZN9rocsparseL16sddmm_ell_kernelILi512ELi8EdlldddEEv20rocsparse_operation_S1_16rocsparse_order_S2_T3_S3_S3_T2_NS_24const_host_device_scalarIT1_EEPKT4_lPKT5_lS7_PT6_PKS3_21rocsparse_index_base_b.has_dyn_sized_stack, 0
	.set _ZN9rocsparseL16sddmm_ell_kernelILi512ELi8EdlldddEEv20rocsparse_operation_S1_16rocsparse_order_S2_T3_S3_S3_T2_NS_24const_host_device_scalarIT1_EEPKT4_lPKT5_lS7_PT6_PKS3_21rocsparse_index_base_b.has_recursion, 0
	.set _ZN9rocsparseL16sddmm_ell_kernelILi512ELi8EdlldddEEv20rocsparse_operation_S1_16rocsparse_order_S2_T3_S3_S3_T2_NS_24const_host_device_scalarIT1_EEPKT4_lPKT5_lS7_PT6_PKS3_21rocsparse_index_base_b.has_indirect_call, 0
	.section	.AMDGPU.csdata,"",@progbits
; Kernel info:
; codeLenInByte = 1836
; TotalNumSgprs: 28
; NumVgprs: 23
; ScratchSize: 0
; MemoryBound: 0
; FloatMode: 240
; IeeeMode: 1
; LDSByteSize: 4096 bytes/workgroup (compile time only)
; SGPRBlocks: 3
; VGPRBlocks: 5
; NumSGPRsForWavesPerEU: 28
; NumVGPRsForWavesPerEU: 23
; Occupancy: 10
; WaveLimiterHint : 0
; COMPUTE_PGM_RSRC2:SCRATCH_EN: 0
; COMPUTE_PGM_RSRC2:USER_SGPR: 6
; COMPUTE_PGM_RSRC2:TRAP_HANDLER: 0
; COMPUTE_PGM_RSRC2:TGID_X_EN: 1
; COMPUTE_PGM_RSRC2:TGID_Y_EN: 0
; COMPUTE_PGM_RSRC2:TGID_Z_EN: 0
; COMPUTE_PGM_RSRC2:TIDIG_COMP_CNT: 0
	.section	.text._ZN9rocsparseL16sddmm_ell_kernelILi512ELi4EdlldddEEv20rocsparse_operation_S1_16rocsparse_order_S2_T3_S3_S3_T2_NS_24const_host_device_scalarIT1_EEPKT4_lPKT5_lS7_PT6_PKS3_21rocsparse_index_base_b,"axG",@progbits,_ZN9rocsparseL16sddmm_ell_kernelILi512ELi4EdlldddEEv20rocsparse_operation_S1_16rocsparse_order_S2_T3_S3_S3_T2_NS_24const_host_device_scalarIT1_EEPKT4_lPKT5_lS7_PT6_PKS3_21rocsparse_index_base_b,comdat
	.globl	_ZN9rocsparseL16sddmm_ell_kernelILi512ELi4EdlldddEEv20rocsparse_operation_S1_16rocsparse_order_S2_T3_S3_S3_T2_NS_24const_host_device_scalarIT1_EEPKT4_lPKT5_lS7_PT6_PKS3_21rocsparse_index_base_b ; -- Begin function _ZN9rocsparseL16sddmm_ell_kernelILi512ELi4EdlldddEEv20rocsparse_operation_S1_16rocsparse_order_S2_T3_S3_S3_T2_NS_24const_host_device_scalarIT1_EEPKT4_lPKT5_lS7_PT6_PKS3_21rocsparse_index_base_b
	.p2align	8
	.type	_ZN9rocsparseL16sddmm_ell_kernelILi512ELi4EdlldddEEv20rocsparse_operation_S1_16rocsparse_order_S2_T3_S3_S3_T2_NS_24const_host_device_scalarIT1_EEPKT4_lPKT5_lS7_PT6_PKS3_21rocsparse_index_base_b,@function
_ZN9rocsparseL16sddmm_ell_kernelILi512ELi4EdlldddEEv20rocsparse_operation_S1_16rocsparse_order_S2_T3_S3_S3_T2_NS_24const_host_device_scalarIT1_EEPKT4_lPKT5_lS7_PT6_PKS3_21rocsparse_index_base_b: ; @_ZN9rocsparseL16sddmm_ell_kernelILi512ELi4EdlldddEEv20rocsparse_operation_S1_16rocsparse_order_S2_T3_S3_S3_T2_NS_24const_host_device_scalarIT1_EEPKT4_lPKT5_lS7_PT6_PKS3_21rocsparse_index_base_b
; %bb.0:
	s_load_dwordx2 s[16:17], s[4:5], 0x70
	s_load_dwordx2 s[2:3], s[4:5], 0x30
	s_load_dwordx4 s[12:15], s[4:5], 0x50
	s_waitcnt lgkmcnt(0)
	s_bitcmp1_b32 s17, 0
	s_cselect_b64 s[8:9], -1, 0
	v_mov_b32_e32 v1, s2
	s_xor_b64 s[0:1], s[8:9], -1
	s_and_b64 vcc, exec, s[8:9]
	v_mov_b32_e32 v2, s3
	s_cbranch_vccnz .LBB45_2
; %bb.1:
	v_mov_b32_e32 v1, s2
	v_mov_b32_e32 v2, s3
	flat_load_dwordx2 v[1:2], v[1:2]
.LBB45_2:
	v_mov_b32_e32 v3, s14
	s_andn2_b64 vcc, exec, s[0:1]
	v_mov_b32_e32 v4, s15
	s_cbranch_vccnz .LBB45_4
; %bb.3:
	v_mov_b32_e32 v3, s14
	v_mov_b32_e32 v4, s15
	flat_load_dwordx2 v[3:4], v[3:4]
.LBB45_4:
	s_waitcnt vmcnt(0) lgkmcnt(0)
	v_cmp_neq_f64_e32 vcc, 0, v[1:2]
	v_cmp_neq_f64_e64 s[0:1], 1.0, v[3:4]
	s_or_b64 s[0:1], vcc, s[0:1]
	s_and_saveexec_b64 s[2:3], s[0:1]
	s_cbranch_execz .LBB45_37
; %bb.5:
	s_load_dwordx4 s[8:11], s[4:5], 0x20
	v_lshrrev_b32_e32 v17, 2, v0
	v_lshl_or_b32 v5, s6, 7, v17
	v_mov_b32_e32 v6, 0
	s_waitcnt lgkmcnt(0)
	v_cmp_gt_i64_e32 vcc, s[10:11], v[5:6]
	s_and_b64 exec, exec, vcc
	s_cbranch_execz .LBB45_37
; %bb.6:
	s_load_dwordx2 s[10:11], s[4:5], 0x10
	s_load_dwordx2 s[6:7], s[4:5], 0x68
	s_mov_b32 s0, 0
                                        ; implicit-def: $vgpr11_vgpr12
	s_waitcnt lgkmcnt(0)
	s_mov_b32 s1, s11
	s_cmp_lg_u64 s[0:1], 0
	s_cselect_b64 s[0:1], -1, 0
	s_and_saveexec_b64 s[2:3], s[0:1]
	s_xor_b64 s[14:15], exec, s[2:3]
	s_cbranch_execz .LBB45_8
; %bb.7:
	s_ashr_i32 s0, s11, 31
	s_add_u32 s2, s10, s0
	s_mov_b32 s1, s0
	s_addc_u32 s3, s11, s0
	s_xor_b64 s[18:19], s[2:3], s[0:1]
	v_cvt_f32_u32_e32 v7, s18
	v_cvt_f32_u32_e32 v8, s19
	s_sub_u32 s2, 0, s18
	s_subb_u32 s3, 0, s19
	v_add_co_u32_e32 v11, vcc, 0, v5
	v_madmk_f32 v7, v8, 0x4f800000, v7
	v_rcp_f32_e32 v7, v7
	v_mul_f32_e32 v7, 0x5f7ffffc, v7
	v_mul_f32_e32 v8, 0x2f800000, v7
	v_trunc_f32_e32 v8, v8
	v_madmk_f32 v7, v8, 0xcf800000, v7
	v_cvt_u32_f32_e32 v8, v8
	v_cvt_u32_f32_e32 v7, v7
	v_readfirstlane_b32 s11, v8
	v_readfirstlane_b32 s0, v7
	s_mul_i32 s1, s2, s11
	s_mul_hi_u32 s20, s2, s0
	s_mul_i32 s17, s3, s0
	s_add_i32 s1, s20, s1
	s_add_i32 s1, s1, s17
	s_mul_i32 s21, s2, s0
	s_mul_i32 s20, s0, s1
	s_mul_hi_u32 s22, s0, s21
	s_mul_hi_u32 s17, s0, s1
	s_add_u32 s20, s22, s20
	s_addc_u32 s17, 0, s17
	s_mul_hi_u32 s23, s11, s21
	s_mul_i32 s21, s11, s21
	s_add_u32 s20, s20, s21
	s_mul_hi_u32 s22, s11, s1
	s_addc_u32 s17, s17, s23
	s_addc_u32 s20, s22, 0
	s_mul_i32 s1, s11, s1
	s_add_u32 s1, s17, s1
	s_addc_u32 s17, 0, s20
	s_add_u32 s20, s0, s1
	s_cselect_b64 s[0:1], -1, 0
	s_cmp_lg_u64 s[0:1], 0
	s_addc_u32 s11, s11, s17
	s_mul_i32 s0, s2, s11
	s_mul_hi_u32 s1, s2, s20
	s_add_i32 s0, s1, s0
	s_mul_i32 s3, s3, s20
	s_add_i32 s0, s0, s3
	s_mul_i32 s2, s2, s20
	s_mul_hi_u32 s3, s11, s2
	s_mul_i32 s17, s11, s2
	s_mul_i32 s22, s20, s0
	s_mul_hi_u32 s2, s20, s2
	s_mul_hi_u32 s21, s20, s0
	s_add_u32 s2, s2, s22
	s_addc_u32 s21, 0, s21
	s_add_u32 s2, s2, s17
	s_mul_hi_u32 s1, s11, s0
	s_addc_u32 s2, s21, s3
	s_addc_u32 s1, s1, 0
	s_mul_i32 s0, s11, s0
	s_add_u32 s0, s2, s0
	s_addc_u32 s2, 0, s1
	s_add_u32 s3, s20, s0
	s_cselect_b64 s[0:1], -1, 0
	s_cmp_lg_u64 s[0:1], 0
	s_addc_u32 s2, s11, s2
	v_mad_u64_u32 v[7:8], s[0:1], v11, s2, 0
	v_mul_hi_u32 v9, v11, s3
	v_addc_co_u32_e64 v12, s[0:1], 0, 0, vcc
	v_add_co_u32_e32 v13, vcc, v9, v7
	v_addc_co_u32_e32 v14, vcc, 0, v8, vcc
	v_mad_u64_u32 v[7:8], s[0:1], v12, s3, 0
	v_mad_u64_u32 v[9:10], s[0:1], v12, s2, 0
	v_add_co_u32_e32 v7, vcc, v13, v7
	v_addc_co_u32_e32 v7, vcc, v14, v8, vcc
	v_addc_co_u32_e32 v8, vcc, 0, v10, vcc
	v_add_co_u32_e32 v7, vcc, v7, v9
	v_addc_co_u32_e32 v8, vcc, 0, v8, vcc
	v_mul_lo_u32 v9, s19, v7
	v_mul_lo_u32 v10, s18, v8
	v_mad_u64_u32 v[7:8], s[0:1], s18, v7, 0
	v_add3_u32 v8, v8, v10, v9
	v_sub_u32_e32 v9, v12, v8
	v_mov_b32_e32 v10, s19
	v_sub_co_u32_e32 v7, vcc, v11, v7
	v_subb_co_u32_e64 v9, s[0:1], v9, v10, vcc
	v_subrev_co_u32_e64 v11, s[0:1], s18, v7
	v_subbrev_co_u32_e64 v13, s[2:3], 0, v9, s[0:1]
	v_cmp_le_u32_e64 s[2:3], s19, v13
	v_cndmask_b32_e64 v14, 0, -1, s[2:3]
	v_cmp_le_u32_e64 s[2:3], s18, v11
	v_subb_co_u32_e64 v9, s[0:1], v9, v10, s[0:1]
	v_cndmask_b32_e64 v15, 0, -1, s[2:3]
	v_cmp_eq_u32_e64 s[2:3], s19, v13
	v_subrev_co_u32_e64 v10, s[0:1], s18, v11
	v_subb_co_u32_e32 v8, vcc, v12, v8, vcc
	v_cndmask_b32_e64 v14, v14, v15, s[2:3]
	v_subbrev_co_u32_e64 v9, s[0:1], 0, v9, s[0:1]
	v_cmp_le_u32_e32 vcc, s19, v8
	v_cmp_ne_u32_e64 s[0:1], 0, v14
	v_cndmask_b32_e64 v12, 0, -1, vcc
	v_cmp_le_u32_e32 vcc, s18, v7
	v_cndmask_b32_e64 v9, v13, v9, s[0:1]
	v_cndmask_b32_e64 v13, 0, -1, vcc
	v_cmp_eq_u32_e32 vcc, s19, v8
	v_cndmask_b32_e32 v12, v12, v13, vcc
	v_cmp_ne_u32_e32 vcc, 0, v12
	v_cndmask_b32_e32 v8, v8, v9, vcc
	v_cndmask_b32_e64 v9, v11, v10, s[0:1]
	v_cndmask_b32_e32 v7, v7, v9, vcc
	v_subrev_co_u32_e32 v11, vcc, 0, v7
	v_subbrev_co_u32_e32 v12, vcc, 0, v8, vcc
.LBB45_8:
	s_andn2_saveexec_b64 s[0:1], s[14:15]
	s_cbranch_execz .LBB45_10
; %bb.9:
	v_cvt_f32_u32_e32 v7, s10
	s_sub_i32 s2, 0, s10
	v_mov_b32_e32 v12, 0
	v_rcp_iflag_f32_e32 v7, v7
	v_mul_f32_e32 v7, 0x4f7ffffe, v7
	v_cvt_u32_f32_e32 v7, v7
	v_mul_lo_u32 v8, s2, v7
	v_mul_hi_u32 v8, v7, v8
	v_add_u32_e32 v7, v7, v8
	v_mul_hi_u32 v7, v5, v7
	v_mul_lo_u32 v7, v7, s10
	v_sub_u32_e32 v7, v5, v7
	v_subrev_u32_e32 v8, s10, v7
	v_cmp_le_u32_e32 vcc, s10, v7
	v_cndmask_b32_e32 v7, v7, v8, vcc
	v_subrev_u32_e32 v8, s10, v7
	v_cmp_le_u32_e32 vcc, s10, v7
	v_cndmask_b32_e32 v11, v7, v8, vcc
.LBB45_10:
	s_or_b64 exec, exec, s[0:1]
	v_lshlrev_b64 v[5:6], 3, v[5:6]
	v_mov_b32_e32 v8, s7
	v_add_co_u32_e32 v7, vcc, s6, v5
	v_addc_co_u32_e32 v8, vcc, v8, v6, vcc
	global_load_dwordx2 v[7:8], v[7:8], off
	s_mov_b64 s[18:19], -1
	s_waitcnt vmcnt(0)
	v_subrev_co_u32_e32 v9, vcc, s16, v7
	v_subbrev_co_u32_e32 v10, vcc, 0, v8, vcc
	v_cmp_lt_i64_e32 vcc, -1, v[9:10]
	s_and_b64 exec, exec, vcc
	s_cbranch_execz .LBB45_37
; %bb.11:
	s_load_dwordx4 s[0:3], s[4:5], 0x0
	s_load_dwordx2 s[6:7], s[4:5], 0x40
                                        ; implicit-def: $vgpr7_vgpr8
	s_waitcnt lgkmcnt(0)
	s_cmp_eq_u32 s2, 1
	s_cselect_b64 s[10:11], -1, 0
	s_cmpk_eq_i32 s0, 0x6f
	s_cselect_b64 s[14:15], -1, 0
	s_cmpk_lg_i32 s0, 0x6f
	s_cselect_b64 s[16:17], -1, 0
	s_cmp_lg_u32 s2, 1
	s_cbranch_scc0 .LBB45_15
; %bb.12:
	v_mov_b32_e32 v7, v11
	s_andn2_b64 vcc, exec, s[14:15]
	v_mov_b32_e32 v8, v12
	s_cbranch_vccnz .LBB45_14
; %bb.13:
	v_mul_lo_u32 v13, v12, s6
	v_mul_lo_u32 v14, v11, s7
	v_mad_u64_u32 v[7:8], s[18:19], v11, s6, 0
	v_add3_u32 v8, v8, v14, v13
.LBB45_14:
	s_mov_b64 s[18:19], 0
.LBB45_15:
	s_andn2_b64 vcc, exec, s[18:19]
	s_cbranch_vccnz .LBB45_19
; %bb.16:
	s_andn2_b64 vcc, exec, s[16:17]
	s_cbranch_vccnz .LBB45_18
; %bb.17:
	v_mul_lo_u32 v7, v12, s6
	v_mul_lo_u32 v8, v11, s7
	v_mad_u64_u32 v[11:12], s[16:17], v11, s6, 0
	v_add3_u32 v12, v12, v8, v7
.LBB45_18:
	v_mov_b32_e32 v7, v11
	v_mov_b32_e32 v8, v12
.LBB45_19:
	s_cmp_eq_u32 s3, 1
	s_cselect_b64 s[18:19], -1, 0
	s_cmpk_eq_i32 s1, 0x6f
	s_cselect_b64 s[20:21], -1, 0
	s_cmpk_lg_i32 s1, 0x6f
	s_cselect_b64 s[0:1], -1, 0
	s_cmp_lg_u32 s3, 1
	s_cbranch_scc0 .LBB45_23
; %bb.20:
	v_mov_b32_e32 v12, v10
	s_andn2_b64 vcc, exec, s[0:1]
	v_mov_b32_e32 v11, v9
	s_cbranch_vccnz .LBB45_22
; %bb.21:
	v_mul_lo_u32 v13, v10, s12
	v_mul_lo_u32 v14, v9, s13
	v_mad_u64_u32 v[11:12], s[0:1], v9, s12, 0
	v_add3_u32 v12, v12, v14, v13
.LBB45_22:
	s_cbranch_execz .LBB45_24
	s_branch .LBB45_27
.LBB45_23:
                                        ; implicit-def: $vgpr11_vgpr12
.LBB45_24:
	s_andn2_b64 vcc, exec, s[20:21]
	s_cbranch_vccnz .LBB45_26
; %bb.25:
	v_mul_lo_u32 v11, v10, s12
	v_mul_lo_u32 v12, v9, s13
	v_mad_u64_u32 v[9:10], s[0:1], v9, s12, 0
	v_add3_u32 v10, v10, v12, v11
.LBB45_26:
	v_mov_b32_e32 v12, v10
	v_mov_b32_e32 v11, v9
.LBB45_27:
	s_load_dwordx2 s[2:3], s[4:5], 0x60
	v_and_b32_e32 v9, 3, v0
	v_mov_b32_e32 v10, 0
	v_cmp_gt_i64_e32 vcc, s[8:9], v[9:10]
	v_mov_b32_e32 v13, 0
	v_mov_b32_e32 v14, 0
	s_and_saveexec_b64 s[16:17], vcc
	s_cbranch_execz .LBB45_31
; %bb.28:
	s_xor_b64 s[0:1], s[14:15], s[10:11]
	s_and_b64 s[0:1], s[0:1], exec
	s_cselect_b32 s1, 0, s7
	s_cselect_b32 s0, 1, s6
	s_xor_b64 s[6:7], s[20:21], s[18:19]
	s_and_b64 s[6:7], s[6:7], exec
	s_cselect_b32 s6, s12, 1
	v_mad_u64_u32 v[13:14], s[10:11], s6, v9, 0
	s_cselect_b32 s7, s13, 0
	v_lshlrev_b64 v[11:12], 3, v[11:12]
	v_mov_b32_e32 v0, v14
	v_mad_u64_u32 v[14:15], s[10:11], s7, v9, v[0:1]
	s_load_dwordx2 s[10:11], s[4:5], 0x38
	s_load_dwordx2 s[12:13], s[4:5], 0x48
	v_mad_u64_u32 v[15:16], s[4:5], s0, v9, 0
	v_lshlrev_b64 v[13:14], 3, v[13:14]
	v_lshlrev_b64 v[7:8], 3, v[7:8]
	v_add_co_u32_e32 v11, vcc, v13, v11
	v_mov_b32_e32 v0, v16
	v_addc_co_u32_e32 v12, vcc, v14, v12, vcc
	v_mad_u64_u32 v[13:14], s[4:5], s1, v9, v[0:1]
	s_waitcnt lgkmcnt(0)
	v_mov_b32_e32 v18, s13
	v_add_co_u32_e32 v11, vcc, s12, v11
	v_mov_b32_e32 v16, v13
	v_lshlrev_b64 v[13:14], 3, v[15:16]
	v_addc_co_u32_e32 v12, vcc, v18, v12, vcc
	v_add_co_u32_e32 v0, vcc, v13, v7
	v_addc_co_u32_e32 v8, vcc, v14, v8, vcc
	v_mov_b32_e32 v13, s11
	v_add_co_u32_e32 v7, vcc, s10, v0
	s_lshl_b64 s[4:5], s[6:7], 5
	v_addc_co_u32_e32 v8, vcc, v13, v8, vcc
	s_lshl_b64 s[6:7], s[0:1], 5
	v_mov_b32_e32 v13, 0
	v_mov_b32_e32 v16, v10
	;; [unrolled: 1-line block ×3, first 2 shown]
	s_mov_b64 s[10:11], 0
	v_mov_b32_e32 v0, s5
	v_mov_b32_e32 v18, s7
	;; [unrolled: 1-line block ×3, first 2 shown]
.LBB45_29:                              ; =>This Inner Loop Header: Depth=1
	global_load_dwordx2 v[19:20], v[7:8], off
	global_load_dwordx2 v[21:22], v[11:12], off
	v_add_co_u32_e32 v15, vcc, 4, v15
	v_addc_co_u32_e32 v16, vcc, 0, v16, vcc
	v_add_co_u32_e32 v11, vcc, s4, v11
	v_addc_co_u32_e32 v12, vcc, v12, v0, vcc
	v_cmp_le_i64_e64 s[0:1], s[8:9], v[15:16]
	v_add_co_u32_e32 v7, vcc, s6, v7
	s_or_b64 s[10:11], s[0:1], s[10:11]
	v_addc_co_u32_e32 v8, vcc, v8, v18, vcc
	s_waitcnt vmcnt(0)
	v_fma_f64 v[13:14], v[19:20], v[21:22], v[13:14]
	s_andn2_b64 exec, exec, s[10:11]
	s_cbranch_execnz .LBB45_29
; %bb.30:
	s_or_b64 exec, exec, s[10:11]
.LBB45_31:
	s_or_b64 exec, exec, s[16:17]
	v_lshlrev_b32_e32 v0, 5, v17
	v_lshl_or_b32 v7, v9, 3, v0
	v_cmp_gt_u32_e32 vcc, 2, v9
	ds_write_b64 v7, v[13:14]
	s_waitcnt lgkmcnt(0)
	s_barrier
	s_and_saveexec_b64 s[0:1], vcc
	s_cbranch_execz .LBB45_33
; %bb.32:
	ds_read2_b64 v[10:13], v7 offset1:2
	s_waitcnt lgkmcnt(0)
	v_add_f64 v[10:11], v[12:13], v[10:11]
	ds_write_b64 v7, v[10:11]
.LBB45_33:
	s_or_b64 exec, exec, s[0:1]
	v_cmp_eq_u32_e32 vcc, 0, v9
	s_waitcnt lgkmcnt(0)
	s_barrier
	s_and_saveexec_b64 s[0:1], vcc
	s_cbranch_execz .LBB45_35
; %bb.34:
	ds_read2_b64 v[8:11], v7 offset1:1
	s_waitcnt lgkmcnt(0)
	v_add_f64 v[8:9], v[10:11], v[8:9]
	ds_write_b64 v7, v[8:9]
.LBB45_35:
	s_or_b64 exec, exec, s[0:1]
	s_waitcnt lgkmcnt(0)
	s_barrier
	s_and_b64 exec, exec, vcc
	s_cbranch_execz .LBB45_37
; %bb.36:
	v_mov_b32_e32 v7, s3
	v_add_co_u32_e32 v5, vcc, s2, v5
	v_addc_co_u32_e32 v6, vcc, v7, v6, vcc
	global_load_dwordx2 v[7:8], v[5:6], off
	ds_read_b64 v[9:10], v0
	s_waitcnt lgkmcnt(0)
	v_mul_f64 v[0:1], v[1:2], v[9:10]
	s_waitcnt vmcnt(0)
	v_fma_f64 v[0:1], v[3:4], v[7:8], v[0:1]
	global_store_dwordx2 v[5:6], v[0:1], off
.LBB45_37:
	s_endpgm
	.section	.rodata,"a",@progbits
	.p2align	6, 0x0
	.amdhsa_kernel _ZN9rocsparseL16sddmm_ell_kernelILi512ELi4EdlldddEEv20rocsparse_operation_S1_16rocsparse_order_S2_T3_S3_S3_T2_NS_24const_host_device_scalarIT1_EEPKT4_lPKT5_lS7_PT6_PKS3_21rocsparse_index_base_b
		.amdhsa_group_segment_fixed_size 4096
		.amdhsa_private_segment_fixed_size 0
		.amdhsa_kernarg_size 120
		.amdhsa_user_sgpr_count 6
		.amdhsa_user_sgpr_private_segment_buffer 1
		.amdhsa_user_sgpr_dispatch_ptr 0
		.amdhsa_user_sgpr_queue_ptr 0
		.amdhsa_user_sgpr_kernarg_segment_ptr 1
		.amdhsa_user_sgpr_dispatch_id 0
		.amdhsa_user_sgpr_flat_scratch_init 0
		.amdhsa_user_sgpr_private_segment_size 0
		.amdhsa_uses_dynamic_stack 0
		.amdhsa_system_sgpr_private_segment_wavefront_offset 0
		.amdhsa_system_sgpr_workgroup_id_x 1
		.amdhsa_system_sgpr_workgroup_id_y 0
		.amdhsa_system_sgpr_workgroup_id_z 0
		.amdhsa_system_sgpr_workgroup_info 0
		.amdhsa_system_vgpr_workitem_id 0
		.amdhsa_next_free_vgpr 23
		.amdhsa_next_free_sgpr 24
		.amdhsa_reserve_vcc 1
		.amdhsa_reserve_flat_scratch 0
		.amdhsa_float_round_mode_32 0
		.amdhsa_float_round_mode_16_64 0
		.amdhsa_float_denorm_mode_32 3
		.amdhsa_float_denorm_mode_16_64 3
		.amdhsa_dx10_clamp 1
		.amdhsa_ieee_mode 1
		.amdhsa_fp16_overflow 0
		.amdhsa_exception_fp_ieee_invalid_op 0
		.amdhsa_exception_fp_denorm_src 0
		.amdhsa_exception_fp_ieee_div_zero 0
		.amdhsa_exception_fp_ieee_overflow 0
		.amdhsa_exception_fp_ieee_underflow 0
		.amdhsa_exception_fp_ieee_inexact 0
		.amdhsa_exception_int_div_zero 0
	.end_amdhsa_kernel
	.section	.text._ZN9rocsparseL16sddmm_ell_kernelILi512ELi4EdlldddEEv20rocsparse_operation_S1_16rocsparse_order_S2_T3_S3_S3_T2_NS_24const_host_device_scalarIT1_EEPKT4_lPKT5_lS7_PT6_PKS3_21rocsparse_index_base_b,"axG",@progbits,_ZN9rocsparseL16sddmm_ell_kernelILi512ELi4EdlldddEEv20rocsparse_operation_S1_16rocsparse_order_S2_T3_S3_S3_T2_NS_24const_host_device_scalarIT1_EEPKT4_lPKT5_lS7_PT6_PKS3_21rocsparse_index_base_b,comdat
.Lfunc_end45:
	.size	_ZN9rocsparseL16sddmm_ell_kernelILi512ELi4EdlldddEEv20rocsparse_operation_S1_16rocsparse_order_S2_T3_S3_S3_T2_NS_24const_host_device_scalarIT1_EEPKT4_lPKT5_lS7_PT6_PKS3_21rocsparse_index_base_b, .Lfunc_end45-_ZN9rocsparseL16sddmm_ell_kernelILi512ELi4EdlldddEEv20rocsparse_operation_S1_16rocsparse_order_S2_T3_S3_S3_T2_NS_24const_host_device_scalarIT1_EEPKT4_lPKT5_lS7_PT6_PKS3_21rocsparse_index_base_b
                                        ; -- End function
	.set _ZN9rocsparseL16sddmm_ell_kernelILi512ELi4EdlldddEEv20rocsparse_operation_S1_16rocsparse_order_S2_T3_S3_S3_T2_NS_24const_host_device_scalarIT1_EEPKT4_lPKT5_lS7_PT6_PKS3_21rocsparse_index_base_b.num_vgpr, 23
	.set _ZN9rocsparseL16sddmm_ell_kernelILi512ELi4EdlldddEEv20rocsparse_operation_S1_16rocsparse_order_S2_T3_S3_S3_T2_NS_24const_host_device_scalarIT1_EEPKT4_lPKT5_lS7_PT6_PKS3_21rocsparse_index_base_b.num_agpr, 0
	.set _ZN9rocsparseL16sddmm_ell_kernelILi512ELi4EdlldddEEv20rocsparse_operation_S1_16rocsparse_order_S2_T3_S3_S3_T2_NS_24const_host_device_scalarIT1_EEPKT4_lPKT5_lS7_PT6_PKS3_21rocsparse_index_base_b.numbered_sgpr, 24
	.set _ZN9rocsparseL16sddmm_ell_kernelILi512ELi4EdlldddEEv20rocsparse_operation_S1_16rocsparse_order_S2_T3_S3_S3_T2_NS_24const_host_device_scalarIT1_EEPKT4_lPKT5_lS7_PT6_PKS3_21rocsparse_index_base_b.num_named_barrier, 0
	.set _ZN9rocsparseL16sddmm_ell_kernelILi512ELi4EdlldddEEv20rocsparse_operation_S1_16rocsparse_order_S2_T3_S3_S3_T2_NS_24const_host_device_scalarIT1_EEPKT4_lPKT5_lS7_PT6_PKS3_21rocsparse_index_base_b.private_seg_size, 0
	.set _ZN9rocsparseL16sddmm_ell_kernelILi512ELi4EdlldddEEv20rocsparse_operation_S1_16rocsparse_order_S2_T3_S3_S3_T2_NS_24const_host_device_scalarIT1_EEPKT4_lPKT5_lS7_PT6_PKS3_21rocsparse_index_base_b.uses_vcc, 1
	.set _ZN9rocsparseL16sddmm_ell_kernelILi512ELi4EdlldddEEv20rocsparse_operation_S1_16rocsparse_order_S2_T3_S3_S3_T2_NS_24const_host_device_scalarIT1_EEPKT4_lPKT5_lS7_PT6_PKS3_21rocsparse_index_base_b.uses_flat_scratch, 0
	.set _ZN9rocsparseL16sddmm_ell_kernelILi512ELi4EdlldddEEv20rocsparse_operation_S1_16rocsparse_order_S2_T3_S3_S3_T2_NS_24const_host_device_scalarIT1_EEPKT4_lPKT5_lS7_PT6_PKS3_21rocsparse_index_base_b.has_dyn_sized_stack, 0
	.set _ZN9rocsparseL16sddmm_ell_kernelILi512ELi4EdlldddEEv20rocsparse_operation_S1_16rocsparse_order_S2_T3_S3_S3_T2_NS_24const_host_device_scalarIT1_EEPKT4_lPKT5_lS7_PT6_PKS3_21rocsparse_index_base_b.has_recursion, 0
	.set _ZN9rocsparseL16sddmm_ell_kernelILi512ELi4EdlldddEEv20rocsparse_operation_S1_16rocsparse_order_S2_T3_S3_S3_T2_NS_24const_host_device_scalarIT1_EEPKT4_lPKT5_lS7_PT6_PKS3_21rocsparse_index_base_b.has_indirect_call, 0
	.section	.AMDGPU.csdata,"",@progbits
; Kernel info:
; codeLenInByte = 1784
; TotalNumSgprs: 28
; NumVgprs: 23
; ScratchSize: 0
; MemoryBound: 0
; FloatMode: 240
; IeeeMode: 1
; LDSByteSize: 4096 bytes/workgroup (compile time only)
; SGPRBlocks: 3
; VGPRBlocks: 5
; NumSGPRsForWavesPerEU: 28
; NumVGPRsForWavesPerEU: 23
; Occupancy: 10
; WaveLimiterHint : 0
; COMPUTE_PGM_RSRC2:SCRATCH_EN: 0
; COMPUTE_PGM_RSRC2:USER_SGPR: 6
; COMPUTE_PGM_RSRC2:TRAP_HANDLER: 0
; COMPUTE_PGM_RSRC2:TGID_X_EN: 1
; COMPUTE_PGM_RSRC2:TGID_Y_EN: 0
; COMPUTE_PGM_RSRC2:TGID_Z_EN: 0
; COMPUTE_PGM_RSRC2:TIDIG_COMP_CNT: 0
	.section	.text._ZN9rocsparseL16sddmm_ell_kernelILi512ELi2EdlldddEEv20rocsparse_operation_S1_16rocsparse_order_S2_T3_S3_S3_T2_NS_24const_host_device_scalarIT1_EEPKT4_lPKT5_lS7_PT6_PKS3_21rocsparse_index_base_b,"axG",@progbits,_ZN9rocsparseL16sddmm_ell_kernelILi512ELi2EdlldddEEv20rocsparse_operation_S1_16rocsparse_order_S2_T3_S3_S3_T2_NS_24const_host_device_scalarIT1_EEPKT4_lPKT5_lS7_PT6_PKS3_21rocsparse_index_base_b,comdat
	.globl	_ZN9rocsparseL16sddmm_ell_kernelILi512ELi2EdlldddEEv20rocsparse_operation_S1_16rocsparse_order_S2_T3_S3_S3_T2_NS_24const_host_device_scalarIT1_EEPKT4_lPKT5_lS7_PT6_PKS3_21rocsparse_index_base_b ; -- Begin function _ZN9rocsparseL16sddmm_ell_kernelILi512ELi2EdlldddEEv20rocsparse_operation_S1_16rocsparse_order_S2_T3_S3_S3_T2_NS_24const_host_device_scalarIT1_EEPKT4_lPKT5_lS7_PT6_PKS3_21rocsparse_index_base_b
	.p2align	8
	.type	_ZN9rocsparseL16sddmm_ell_kernelILi512ELi2EdlldddEEv20rocsparse_operation_S1_16rocsparse_order_S2_T3_S3_S3_T2_NS_24const_host_device_scalarIT1_EEPKT4_lPKT5_lS7_PT6_PKS3_21rocsparse_index_base_b,@function
_ZN9rocsparseL16sddmm_ell_kernelILi512ELi2EdlldddEEv20rocsparse_operation_S1_16rocsparse_order_S2_T3_S3_S3_T2_NS_24const_host_device_scalarIT1_EEPKT4_lPKT5_lS7_PT6_PKS3_21rocsparse_index_base_b: ; @_ZN9rocsparseL16sddmm_ell_kernelILi512ELi2EdlldddEEv20rocsparse_operation_S1_16rocsparse_order_S2_T3_S3_S3_T2_NS_24const_host_device_scalarIT1_EEPKT4_lPKT5_lS7_PT6_PKS3_21rocsparse_index_base_b
; %bb.0:
	s_load_dwordx2 s[16:17], s[4:5], 0x70
	s_load_dwordx2 s[2:3], s[4:5], 0x30
	s_load_dwordx4 s[12:15], s[4:5], 0x50
	s_waitcnt lgkmcnt(0)
	s_bitcmp1_b32 s17, 0
	s_cselect_b64 s[8:9], -1, 0
	v_mov_b32_e32 v1, s2
	s_xor_b64 s[0:1], s[8:9], -1
	s_and_b64 vcc, exec, s[8:9]
	v_mov_b32_e32 v2, s3
	s_cbranch_vccnz .LBB46_2
; %bb.1:
	v_mov_b32_e32 v1, s2
	v_mov_b32_e32 v2, s3
	flat_load_dwordx2 v[1:2], v[1:2]
.LBB46_2:
	v_mov_b32_e32 v3, s14
	s_andn2_b64 vcc, exec, s[0:1]
	v_mov_b32_e32 v4, s15
	s_cbranch_vccnz .LBB46_4
; %bb.3:
	v_mov_b32_e32 v3, s14
	v_mov_b32_e32 v4, s15
	flat_load_dwordx2 v[3:4], v[3:4]
.LBB46_4:
	s_waitcnt vmcnt(0) lgkmcnt(0)
	v_cmp_neq_f64_e32 vcc, 0, v[1:2]
	v_cmp_neq_f64_e64 s[0:1], 1.0, v[3:4]
	s_or_b64 s[0:1], vcc, s[0:1]
	s_and_saveexec_b64 s[2:3], s[0:1]
	s_cbranch_execz .LBB46_35
; %bb.5:
	s_load_dwordx4 s[8:11], s[4:5], 0x20
	v_lshrrev_b32_e32 v17, 1, v0
	v_lshl_or_b32 v5, s6, 8, v17
	v_mov_b32_e32 v6, 0
	s_waitcnt lgkmcnt(0)
	v_cmp_gt_i64_e32 vcc, s[10:11], v[5:6]
	s_and_b64 exec, exec, vcc
	s_cbranch_execz .LBB46_35
; %bb.6:
	s_load_dwordx2 s[10:11], s[4:5], 0x10
	s_load_dwordx2 s[6:7], s[4:5], 0x68
	s_mov_b32 s0, 0
                                        ; implicit-def: $vgpr11_vgpr12
	s_waitcnt lgkmcnt(0)
	s_mov_b32 s1, s11
	s_cmp_lg_u64 s[0:1], 0
	s_cselect_b64 s[0:1], -1, 0
	s_and_saveexec_b64 s[2:3], s[0:1]
	s_xor_b64 s[14:15], exec, s[2:3]
	s_cbranch_execz .LBB46_8
; %bb.7:
	s_ashr_i32 s0, s11, 31
	s_add_u32 s2, s10, s0
	s_mov_b32 s1, s0
	s_addc_u32 s3, s11, s0
	s_xor_b64 s[18:19], s[2:3], s[0:1]
	v_cvt_f32_u32_e32 v7, s18
	v_cvt_f32_u32_e32 v8, s19
	s_sub_u32 s2, 0, s18
	s_subb_u32 s3, 0, s19
	v_add_co_u32_e32 v11, vcc, 0, v5
	v_madmk_f32 v7, v8, 0x4f800000, v7
	v_rcp_f32_e32 v7, v7
	v_mul_f32_e32 v7, 0x5f7ffffc, v7
	v_mul_f32_e32 v8, 0x2f800000, v7
	v_trunc_f32_e32 v8, v8
	v_madmk_f32 v7, v8, 0xcf800000, v7
	v_cvt_u32_f32_e32 v8, v8
	v_cvt_u32_f32_e32 v7, v7
	v_readfirstlane_b32 s11, v8
	v_readfirstlane_b32 s0, v7
	s_mul_i32 s1, s2, s11
	s_mul_hi_u32 s20, s2, s0
	s_mul_i32 s17, s3, s0
	s_add_i32 s1, s20, s1
	s_add_i32 s1, s1, s17
	s_mul_i32 s21, s2, s0
	s_mul_i32 s20, s0, s1
	s_mul_hi_u32 s22, s0, s21
	s_mul_hi_u32 s17, s0, s1
	s_add_u32 s20, s22, s20
	s_addc_u32 s17, 0, s17
	s_mul_hi_u32 s23, s11, s21
	s_mul_i32 s21, s11, s21
	s_add_u32 s20, s20, s21
	s_mul_hi_u32 s22, s11, s1
	s_addc_u32 s17, s17, s23
	s_addc_u32 s20, s22, 0
	s_mul_i32 s1, s11, s1
	s_add_u32 s1, s17, s1
	s_addc_u32 s17, 0, s20
	s_add_u32 s20, s0, s1
	s_cselect_b64 s[0:1], -1, 0
	s_cmp_lg_u64 s[0:1], 0
	s_addc_u32 s11, s11, s17
	s_mul_i32 s0, s2, s11
	s_mul_hi_u32 s1, s2, s20
	s_add_i32 s0, s1, s0
	s_mul_i32 s3, s3, s20
	s_add_i32 s0, s0, s3
	s_mul_i32 s2, s2, s20
	s_mul_hi_u32 s3, s11, s2
	s_mul_i32 s17, s11, s2
	s_mul_i32 s22, s20, s0
	s_mul_hi_u32 s2, s20, s2
	s_mul_hi_u32 s21, s20, s0
	s_add_u32 s2, s2, s22
	s_addc_u32 s21, 0, s21
	s_add_u32 s2, s2, s17
	s_mul_hi_u32 s1, s11, s0
	s_addc_u32 s2, s21, s3
	s_addc_u32 s1, s1, 0
	s_mul_i32 s0, s11, s0
	s_add_u32 s0, s2, s0
	s_addc_u32 s2, 0, s1
	s_add_u32 s3, s20, s0
	s_cselect_b64 s[0:1], -1, 0
	s_cmp_lg_u64 s[0:1], 0
	s_addc_u32 s2, s11, s2
	v_mad_u64_u32 v[7:8], s[0:1], v11, s2, 0
	v_mul_hi_u32 v9, v11, s3
	v_addc_co_u32_e64 v12, s[0:1], 0, 0, vcc
	v_add_co_u32_e32 v13, vcc, v9, v7
	v_addc_co_u32_e32 v14, vcc, 0, v8, vcc
	v_mad_u64_u32 v[7:8], s[0:1], v12, s3, 0
	v_mad_u64_u32 v[9:10], s[0:1], v12, s2, 0
	v_add_co_u32_e32 v7, vcc, v13, v7
	v_addc_co_u32_e32 v7, vcc, v14, v8, vcc
	v_addc_co_u32_e32 v8, vcc, 0, v10, vcc
	v_add_co_u32_e32 v7, vcc, v7, v9
	v_addc_co_u32_e32 v8, vcc, 0, v8, vcc
	v_mul_lo_u32 v9, s19, v7
	v_mul_lo_u32 v10, s18, v8
	v_mad_u64_u32 v[7:8], s[0:1], s18, v7, 0
	v_add3_u32 v8, v8, v10, v9
	v_sub_u32_e32 v9, v12, v8
	v_mov_b32_e32 v10, s19
	v_sub_co_u32_e32 v7, vcc, v11, v7
	v_subb_co_u32_e64 v9, s[0:1], v9, v10, vcc
	v_subrev_co_u32_e64 v11, s[0:1], s18, v7
	v_subbrev_co_u32_e64 v13, s[2:3], 0, v9, s[0:1]
	v_cmp_le_u32_e64 s[2:3], s19, v13
	v_cndmask_b32_e64 v14, 0, -1, s[2:3]
	v_cmp_le_u32_e64 s[2:3], s18, v11
	v_subb_co_u32_e64 v9, s[0:1], v9, v10, s[0:1]
	v_cndmask_b32_e64 v15, 0, -1, s[2:3]
	v_cmp_eq_u32_e64 s[2:3], s19, v13
	v_subrev_co_u32_e64 v10, s[0:1], s18, v11
	v_subb_co_u32_e32 v8, vcc, v12, v8, vcc
	v_cndmask_b32_e64 v14, v14, v15, s[2:3]
	v_subbrev_co_u32_e64 v9, s[0:1], 0, v9, s[0:1]
	v_cmp_le_u32_e32 vcc, s19, v8
	v_cmp_ne_u32_e64 s[0:1], 0, v14
	v_cndmask_b32_e64 v12, 0, -1, vcc
	v_cmp_le_u32_e32 vcc, s18, v7
	v_cndmask_b32_e64 v9, v13, v9, s[0:1]
	v_cndmask_b32_e64 v13, 0, -1, vcc
	v_cmp_eq_u32_e32 vcc, s19, v8
	v_cndmask_b32_e32 v12, v12, v13, vcc
	v_cmp_ne_u32_e32 vcc, 0, v12
	v_cndmask_b32_e32 v8, v8, v9, vcc
	v_cndmask_b32_e64 v9, v11, v10, s[0:1]
	v_cndmask_b32_e32 v7, v7, v9, vcc
	v_subrev_co_u32_e32 v11, vcc, 0, v7
	v_subbrev_co_u32_e32 v12, vcc, 0, v8, vcc
.LBB46_8:
	s_andn2_saveexec_b64 s[0:1], s[14:15]
	s_cbranch_execz .LBB46_10
; %bb.9:
	v_cvt_f32_u32_e32 v7, s10
	s_sub_i32 s2, 0, s10
	v_mov_b32_e32 v12, 0
	v_rcp_iflag_f32_e32 v7, v7
	v_mul_f32_e32 v7, 0x4f7ffffe, v7
	v_cvt_u32_f32_e32 v7, v7
	v_mul_lo_u32 v8, s2, v7
	v_mul_hi_u32 v8, v7, v8
	v_add_u32_e32 v7, v7, v8
	v_mul_hi_u32 v7, v5, v7
	v_mul_lo_u32 v7, v7, s10
	v_sub_u32_e32 v7, v5, v7
	v_subrev_u32_e32 v8, s10, v7
	v_cmp_le_u32_e32 vcc, s10, v7
	v_cndmask_b32_e32 v7, v7, v8, vcc
	v_subrev_u32_e32 v8, s10, v7
	v_cmp_le_u32_e32 vcc, s10, v7
	v_cndmask_b32_e32 v11, v7, v8, vcc
.LBB46_10:
	s_or_b64 exec, exec, s[0:1]
	v_lshlrev_b64 v[5:6], 3, v[5:6]
	v_mov_b32_e32 v8, s7
	v_add_co_u32_e32 v7, vcc, s6, v5
	v_addc_co_u32_e32 v8, vcc, v8, v6, vcc
	global_load_dwordx2 v[7:8], v[7:8], off
	s_mov_b64 s[18:19], -1
	s_waitcnt vmcnt(0)
	v_subrev_co_u32_e32 v9, vcc, s16, v7
	v_subbrev_co_u32_e32 v10, vcc, 0, v8, vcc
	v_cmp_lt_i64_e32 vcc, -1, v[9:10]
	s_and_b64 exec, exec, vcc
	s_cbranch_execz .LBB46_35
; %bb.11:
	s_load_dwordx4 s[0:3], s[4:5], 0x0
	s_load_dwordx2 s[6:7], s[4:5], 0x40
                                        ; implicit-def: $vgpr7_vgpr8
	s_waitcnt lgkmcnt(0)
	s_cmp_eq_u32 s2, 1
	s_cselect_b64 s[10:11], -1, 0
	s_cmpk_eq_i32 s0, 0x6f
	s_cselect_b64 s[14:15], -1, 0
	s_cmpk_lg_i32 s0, 0x6f
	s_cselect_b64 s[16:17], -1, 0
	s_cmp_lg_u32 s2, 1
	s_cbranch_scc0 .LBB46_15
; %bb.12:
	v_mov_b32_e32 v7, v11
	s_andn2_b64 vcc, exec, s[14:15]
	v_mov_b32_e32 v8, v12
	s_cbranch_vccnz .LBB46_14
; %bb.13:
	v_mul_lo_u32 v13, v12, s6
	v_mul_lo_u32 v14, v11, s7
	v_mad_u64_u32 v[7:8], s[18:19], v11, s6, 0
	v_add3_u32 v8, v8, v14, v13
.LBB46_14:
	s_mov_b64 s[18:19], 0
.LBB46_15:
	s_andn2_b64 vcc, exec, s[18:19]
	s_cbranch_vccnz .LBB46_19
; %bb.16:
	s_andn2_b64 vcc, exec, s[16:17]
	s_cbranch_vccnz .LBB46_18
; %bb.17:
	v_mul_lo_u32 v7, v12, s6
	v_mul_lo_u32 v8, v11, s7
	v_mad_u64_u32 v[11:12], s[16:17], v11, s6, 0
	v_add3_u32 v12, v12, v8, v7
.LBB46_18:
	v_mov_b32_e32 v7, v11
	v_mov_b32_e32 v8, v12
.LBB46_19:
	s_cmp_eq_u32 s3, 1
	s_cselect_b64 s[18:19], -1, 0
	s_cmpk_eq_i32 s1, 0x6f
	s_cselect_b64 s[20:21], -1, 0
	s_cmpk_lg_i32 s1, 0x6f
	s_cselect_b64 s[0:1], -1, 0
	s_cmp_lg_u32 s3, 1
	s_cbranch_scc0 .LBB46_23
; %bb.20:
	v_mov_b32_e32 v12, v10
	s_andn2_b64 vcc, exec, s[0:1]
	v_mov_b32_e32 v11, v9
	s_cbranch_vccnz .LBB46_22
; %bb.21:
	v_mul_lo_u32 v13, v10, s12
	v_mul_lo_u32 v14, v9, s13
	v_mad_u64_u32 v[11:12], s[0:1], v9, s12, 0
	v_add3_u32 v12, v12, v14, v13
.LBB46_22:
	s_cbranch_execz .LBB46_24
	s_branch .LBB46_27
.LBB46_23:
                                        ; implicit-def: $vgpr11_vgpr12
.LBB46_24:
	s_andn2_b64 vcc, exec, s[20:21]
	s_cbranch_vccnz .LBB46_26
; %bb.25:
	v_mul_lo_u32 v11, v10, s12
	v_mul_lo_u32 v12, v9, s13
	v_mad_u64_u32 v[9:10], s[0:1], v9, s12, 0
	v_add3_u32 v10, v10, v12, v11
.LBB46_26:
	v_mov_b32_e32 v12, v10
	v_mov_b32_e32 v11, v9
.LBB46_27:
	s_load_dwordx2 s[2:3], s[4:5], 0x60
	v_and_b32_e32 v9, 1, v0
	v_mov_b32_e32 v10, 0
	v_cmp_gt_i64_e32 vcc, s[8:9], v[9:10]
	v_mov_b32_e32 v13, 0
	v_mov_b32_e32 v14, 0
	s_and_saveexec_b64 s[16:17], vcc
	s_cbranch_execz .LBB46_31
; %bb.28:
	s_xor_b64 s[0:1], s[14:15], s[10:11]
	s_and_b64 s[0:1], s[0:1], exec
	s_cselect_b32 s1, 0, s7
	s_cselect_b32 s0, 1, s6
	s_xor_b64 s[6:7], s[20:21], s[18:19]
	s_and_b64 s[6:7], s[6:7], exec
	s_cselect_b32 s7, s13, 0
	s_cselect_b32 s6, s12, 1
	v_mul_lo_u32 v14, s7, v9
	v_mul_lo_u32 v13, s6, v9
	v_lshlrev_b64 v[11:12], 3, v[11:12]
	s_load_dwordx2 s[10:11], s[4:5], 0x38
	s_load_dwordx2 s[12:13], s[4:5], 0x48
	v_lshlrev_b64 v[7:8], 3, v[7:8]
	v_lshlrev_b64 v[13:14], 3, v[13:14]
	s_lshl_b64 s[4:5], s[6:7], 4
	v_add_co_u32_e32 v0, vcc, v13, v11
	v_addc_co_u32_e32 v12, vcc, v14, v12, vcc
	v_mul_lo_u32 v14, s1, v9
	v_mul_lo_u32 v13, s0, v9
	s_waitcnt lgkmcnt(0)
	v_mov_b32_e32 v15, s13
	v_add_co_u32_e32 v11, vcc, s12, v0
	v_lshlrev_b64 v[13:14], 3, v[13:14]
	v_addc_co_u32_e32 v12, vcc, v15, v12, vcc
	v_add_co_u32_e32 v0, vcc, v13, v7
	v_addc_co_u32_e32 v8, vcc, v14, v8, vcc
	v_mov_b32_e32 v13, s11
	v_add_co_u32_e32 v7, vcc, s10, v0
	v_addc_co_u32_e32 v8, vcc, v13, v8, vcc
	s_lshl_b64 s[6:7], s[0:1], 4
	v_mov_b32_e32 v13, 0
	v_mov_b32_e32 v16, v10
	;; [unrolled: 1-line block ×3, first 2 shown]
	s_mov_b64 s[10:11], 0
	v_mov_b32_e32 v0, s5
	v_mov_b32_e32 v18, s7
	;; [unrolled: 1-line block ×3, first 2 shown]
.LBB46_29:                              ; =>This Inner Loop Header: Depth=1
	global_load_dwordx2 v[19:20], v[7:8], off
	global_load_dwordx2 v[21:22], v[11:12], off
	v_add_co_u32_e32 v15, vcc, 2, v15
	v_addc_co_u32_e32 v16, vcc, 0, v16, vcc
	v_add_co_u32_e32 v11, vcc, s4, v11
	v_addc_co_u32_e32 v12, vcc, v12, v0, vcc
	v_cmp_le_i64_e64 s[0:1], s[8:9], v[15:16]
	v_add_co_u32_e32 v7, vcc, s6, v7
	s_or_b64 s[10:11], s[0:1], s[10:11]
	v_addc_co_u32_e32 v8, vcc, v8, v18, vcc
	s_waitcnt vmcnt(0)
	v_fma_f64 v[13:14], v[19:20], v[21:22], v[13:14]
	s_andn2_b64 exec, exec, s[10:11]
	s_cbranch_execnz .LBB46_29
; %bb.30:
	s_or_b64 exec, exec, s[10:11]
.LBB46_31:
	s_or_b64 exec, exec, s[16:17]
	v_lshlrev_b32_e32 v0, 4, v17
	v_lshl_or_b32 v7, v9, 3, v0
	v_cmp_eq_u32_e32 vcc, 0, v9
	ds_write_b64 v7, v[13:14]
	s_waitcnt lgkmcnt(0)
	s_barrier
	s_and_saveexec_b64 s[0:1], vcc
	s_cbranch_execz .LBB46_33
; %bb.32:
	ds_read_b64 v[8:9], v0 offset:8
	ds_read_b64 v[10:11], v7
	s_waitcnt lgkmcnt(0)
	v_add_f64 v[8:9], v[8:9], v[10:11]
	ds_write_b64 v7, v[8:9]
.LBB46_33:
	s_or_b64 exec, exec, s[0:1]
	s_waitcnt lgkmcnt(0)
	s_barrier
	s_and_b64 exec, exec, vcc
	s_cbranch_execz .LBB46_35
; %bb.34:
	v_mov_b32_e32 v7, s3
	v_add_co_u32_e32 v5, vcc, s2, v5
	v_addc_co_u32_e32 v6, vcc, v7, v6, vcc
	global_load_dwordx2 v[7:8], v[5:6], off
	ds_read_b64 v[9:10], v0
	s_waitcnt lgkmcnt(0)
	v_mul_f64 v[0:1], v[1:2], v[9:10]
	s_waitcnt vmcnt(0)
	v_fma_f64 v[0:1], v[3:4], v[7:8], v[0:1]
	global_store_dwordx2 v[5:6], v[0:1], off
.LBB46_35:
	s_endpgm
	.section	.rodata,"a",@progbits
	.p2align	6, 0x0
	.amdhsa_kernel _ZN9rocsparseL16sddmm_ell_kernelILi512ELi2EdlldddEEv20rocsparse_operation_S1_16rocsparse_order_S2_T3_S3_S3_T2_NS_24const_host_device_scalarIT1_EEPKT4_lPKT5_lS7_PT6_PKS3_21rocsparse_index_base_b
		.amdhsa_group_segment_fixed_size 4096
		.amdhsa_private_segment_fixed_size 0
		.amdhsa_kernarg_size 120
		.amdhsa_user_sgpr_count 6
		.amdhsa_user_sgpr_private_segment_buffer 1
		.amdhsa_user_sgpr_dispatch_ptr 0
		.amdhsa_user_sgpr_queue_ptr 0
		.amdhsa_user_sgpr_kernarg_segment_ptr 1
		.amdhsa_user_sgpr_dispatch_id 0
		.amdhsa_user_sgpr_flat_scratch_init 0
		.amdhsa_user_sgpr_private_segment_size 0
		.amdhsa_uses_dynamic_stack 0
		.amdhsa_system_sgpr_private_segment_wavefront_offset 0
		.amdhsa_system_sgpr_workgroup_id_x 1
		.amdhsa_system_sgpr_workgroup_id_y 0
		.amdhsa_system_sgpr_workgroup_id_z 0
		.amdhsa_system_sgpr_workgroup_info 0
		.amdhsa_system_vgpr_workitem_id 0
		.amdhsa_next_free_vgpr 23
		.amdhsa_next_free_sgpr 24
		.amdhsa_reserve_vcc 1
		.amdhsa_reserve_flat_scratch 0
		.amdhsa_float_round_mode_32 0
		.amdhsa_float_round_mode_16_64 0
		.amdhsa_float_denorm_mode_32 3
		.amdhsa_float_denorm_mode_16_64 3
		.amdhsa_dx10_clamp 1
		.amdhsa_ieee_mode 1
		.amdhsa_fp16_overflow 0
		.amdhsa_exception_fp_ieee_invalid_op 0
		.amdhsa_exception_fp_denorm_src 0
		.amdhsa_exception_fp_ieee_div_zero 0
		.amdhsa_exception_fp_ieee_overflow 0
		.amdhsa_exception_fp_ieee_underflow 0
		.amdhsa_exception_fp_ieee_inexact 0
		.amdhsa_exception_int_div_zero 0
	.end_amdhsa_kernel
	.section	.text._ZN9rocsparseL16sddmm_ell_kernelILi512ELi2EdlldddEEv20rocsparse_operation_S1_16rocsparse_order_S2_T3_S3_S3_T2_NS_24const_host_device_scalarIT1_EEPKT4_lPKT5_lS7_PT6_PKS3_21rocsparse_index_base_b,"axG",@progbits,_ZN9rocsparseL16sddmm_ell_kernelILi512ELi2EdlldddEEv20rocsparse_operation_S1_16rocsparse_order_S2_T3_S3_S3_T2_NS_24const_host_device_scalarIT1_EEPKT4_lPKT5_lS7_PT6_PKS3_21rocsparse_index_base_b,comdat
.Lfunc_end46:
	.size	_ZN9rocsparseL16sddmm_ell_kernelILi512ELi2EdlldddEEv20rocsparse_operation_S1_16rocsparse_order_S2_T3_S3_S3_T2_NS_24const_host_device_scalarIT1_EEPKT4_lPKT5_lS7_PT6_PKS3_21rocsparse_index_base_b, .Lfunc_end46-_ZN9rocsparseL16sddmm_ell_kernelILi512ELi2EdlldddEEv20rocsparse_operation_S1_16rocsparse_order_S2_T3_S3_S3_T2_NS_24const_host_device_scalarIT1_EEPKT4_lPKT5_lS7_PT6_PKS3_21rocsparse_index_base_b
                                        ; -- End function
	.set _ZN9rocsparseL16sddmm_ell_kernelILi512ELi2EdlldddEEv20rocsparse_operation_S1_16rocsparse_order_S2_T3_S3_S3_T2_NS_24const_host_device_scalarIT1_EEPKT4_lPKT5_lS7_PT6_PKS3_21rocsparse_index_base_b.num_vgpr, 23
	.set _ZN9rocsparseL16sddmm_ell_kernelILi512ELi2EdlldddEEv20rocsparse_operation_S1_16rocsparse_order_S2_T3_S3_S3_T2_NS_24const_host_device_scalarIT1_EEPKT4_lPKT5_lS7_PT6_PKS3_21rocsparse_index_base_b.num_agpr, 0
	.set _ZN9rocsparseL16sddmm_ell_kernelILi512ELi2EdlldddEEv20rocsparse_operation_S1_16rocsparse_order_S2_T3_S3_S3_T2_NS_24const_host_device_scalarIT1_EEPKT4_lPKT5_lS7_PT6_PKS3_21rocsparse_index_base_b.numbered_sgpr, 24
	.set _ZN9rocsparseL16sddmm_ell_kernelILi512ELi2EdlldddEEv20rocsparse_operation_S1_16rocsparse_order_S2_T3_S3_S3_T2_NS_24const_host_device_scalarIT1_EEPKT4_lPKT5_lS7_PT6_PKS3_21rocsparse_index_base_b.num_named_barrier, 0
	.set _ZN9rocsparseL16sddmm_ell_kernelILi512ELi2EdlldddEEv20rocsparse_operation_S1_16rocsparse_order_S2_T3_S3_S3_T2_NS_24const_host_device_scalarIT1_EEPKT4_lPKT5_lS7_PT6_PKS3_21rocsparse_index_base_b.private_seg_size, 0
	.set _ZN9rocsparseL16sddmm_ell_kernelILi512ELi2EdlldddEEv20rocsparse_operation_S1_16rocsparse_order_S2_T3_S3_S3_T2_NS_24const_host_device_scalarIT1_EEPKT4_lPKT5_lS7_PT6_PKS3_21rocsparse_index_base_b.uses_vcc, 1
	.set _ZN9rocsparseL16sddmm_ell_kernelILi512ELi2EdlldddEEv20rocsparse_operation_S1_16rocsparse_order_S2_T3_S3_S3_T2_NS_24const_host_device_scalarIT1_EEPKT4_lPKT5_lS7_PT6_PKS3_21rocsparse_index_base_b.uses_flat_scratch, 0
	.set _ZN9rocsparseL16sddmm_ell_kernelILi512ELi2EdlldddEEv20rocsparse_operation_S1_16rocsparse_order_S2_T3_S3_S3_T2_NS_24const_host_device_scalarIT1_EEPKT4_lPKT5_lS7_PT6_PKS3_21rocsparse_index_base_b.has_dyn_sized_stack, 0
	.set _ZN9rocsparseL16sddmm_ell_kernelILi512ELi2EdlldddEEv20rocsparse_operation_S1_16rocsparse_order_S2_T3_S3_S3_T2_NS_24const_host_device_scalarIT1_EEPKT4_lPKT5_lS7_PT6_PKS3_21rocsparse_index_base_b.has_recursion, 0
	.set _ZN9rocsparseL16sddmm_ell_kernelILi512ELi2EdlldddEEv20rocsparse_operation_S1_16rocsparse_order_S2_T3_S3_S3_T2_NS_24const_host_device_scalarIT1_EEPKT4_lPKT5_lS7_PT6_PKS3_21rocsparse_index_base_b.has_indirect_call, 0
	.section	.AMDGPU.csdata,"",@progbits
; Kernel info:
; codeLenInByte = 1728
; TotalNumSgprs: 28
; NumVgprs: 23
; ScratchSize: 0
; MemoryBound: 0
; FloatMode: 240
; IeeeMode: 1
; LDSByteSize: 4096 bytes/workgroup (compile time only)
; SGPRBlocks: 3
; VGPRBlocks: 5
; NumSGPRsForWavesPerEU: 28
; NumVGPRsForWavesPerEU: 23
; Occupancy: 10
; WaveLimiterHint : 0
; COMPUTE_PGM_RSRC2:SCRATCH_EN: 0
; COMPUTE_PGM_RSRC2:USER_SGPR: 6
; COMPUTE_PGM_RSRC2:TRAP_HANDLER: 0
; COMPUTE_PGM_RSRC2:TGID_X_EN: 1
; COMPUTE_PGM_RSRC2:TGID_Y_EN: 0
; COMPUTE_PGM_RSRC2:TGID_Z_EN: 0
; COMPUTE_PGM_RSRC2:TIDIG_COMP_CNT: 0
	.section	.text._ZN9rocsparseL16sddmm_ell_kernelILi512ELi1EdlldddEEv20rocsparse_operation_S1_16rocsparse_order_S2_T3_S3_S3_T2_NS_24const_host_device_scalarIT1_EEPKT4_lPKT5_lS7_PT6_PKS3_21rocsparse_index_base_b,"axG",@progbits,_ZN9rocsparseL16sddmm_ell_kernelILi512ELi1EdlldddEEv20rocsparse_operation_S1_16rocsparse_order_S2_T3_S3_S3_T2_NS_24const_host_device_scalarIT1_EEPKT4_lPKT5_lS7_PT6_PKS3_21rocsparse_index_base_b,comdat
	.globl	_ZN9rocsparseL16sddmm_ell_kernelILi512ELi1EdlldddEEv20rocsparse_operation_S1_16rocsparse_order_S2_T3_S3_S3_T2_NS_24const_host_device_scalarIT1_EEPKT4_lPKT5_lS7_PT6_PKS3_21rocsparse_index_base_b ; -- Begin function _ZN9rocsparseL16sddmm_ell_kernelILi512ELi1EdlldddEEv20rocsparse_operation_S1_16rocsparse_order_S2_T3_S3_S3_T2_NS_24const_host_device_scalarIT1_EEPKT4_lPKT5_lS7_PT6_PKS3_21rocsparse_index_base_b
	.p2align	8
	.type	_ZN9rocsparseL16sddmm_ell_kernelILi512ELi1EdlldddEEv20rocsparse_operation_S1_16rocsparse_order_S2_T3_S3_S3_T2_NS_24const_host_device_scalarIT1_EEPKT4_lPKT5_lS7_PT6_PKS3_21rocsparse_index_base_b,@function
_ZN9rocsparseL16sddmm_ell_kernelILi512ELi1EdlldddEEv20rocsparse_operation_S1_16rocsparse_order_S2_T3_S3_S3_T2_NS_24const_host_device_scalarIT1_EEPKT4_lPKT5_lS7_PT6_PKS3_21rocsparse_index_base_b: ; @_ZN9rocsparseL16sddmm_ell_kernelILi512ELi1EdlldddEEv20rocsparse_operation_S1_16rocsparse_order_S2_T3_S3_S3_T2_NS_24const_host_device_scalarIT1_EEPKT4_lPKT5_lS7_PT6_PKS3_21rocsparse_index_base_b
; %bb.0:
	s_load_dwordx2 s[16:17], s[4:5], 0x70
	s_load_dwordx2 s[2:3], s[4:5], 0x30
	s_load_dwordx4 s[12:15], s[4:5], 0x50
	s_waitcnt lgkmcnt(0)
	s_bitcmp1_b32 s17, 0
	s_cselect_b64 s[8:9], -1, 0
	v_mov_b32_e32 v1, s2
	s_xor_b64 s[0:1], s[8:9], -1
	s_and_b64 vcc, exec, s[8:9]
	v_mov_b32_e32 v2, s3
	s_cbranch_vccnz .LBB47_2
; %bb.1:
	v_mov_b32_e32 v1, s2
	v_mov_b32_e32 v2, s3
	flat_load_dwordx2 v[1:2], v[1:2]
.LBB47_2:
	v_mov_b32_e32 v3, s14
	s_andn2_b64 vcc, exec, s[0:1]
	v_mov_b32_e32 v4, s15
	s_cbranch_vccnz .LBB47_4
; %bb.3:
	v_mov_b32_e32 v3, s14
	v_mov_b32_e32 v4, s15
	flat_load_dwordx2 v[3:4], v[3:4]
.LBB47_4:
	s_waitcnt vmcnt(0) lgkmcnt(0)
	v_cmp_neq_f64_e32 vcc, 0, v[1:2]
	v_cmp_neq_f64_e64 s[0:1], 1.0, v[3:4]
	s_or_b64 s[0:1], vcc, s[0:1]
	s_and_saveexec_b64 s[2:3], s[0:1]
	s_cbranch_execz .LBB47_32
; %bb.5:
	s_load_dwordx4 s[8:11], s[4:5], 0x20
	v_lshl_or_b32 v5, s6, 9, v0
	v_mov_b32_e32 v6, 0
	s_waitcnt lgkmcnt(0)
	v_cmp_gt_i64_e32 vcc, s[10:11], v[5:6]
	s_and_b64 exec, exec, vcc
	s_cbranch_execz .LBB47_32
; %bb.6:
	s_load_dwordx2 s[10:11], s[4:5], 0x10
	s_load_dwordx2 s[6:7], s[4:5], 0x68
	s_mov_b32 s0, 0
                                        ; implicit-def: $vgpr11_vgpr12
	s_waitcnt lgkmcnt(0)
	s_mov_b32 s1, s11
	s_cmp_lg_u64 s[0:1], 0
	s_cselect_b64 s[0:1], -1, 0
	s_and_saveexec_b64 s[2:3], s[0:1]
	s_xor_b64 s[14:15], exec, s[2:3]
	s_cbranch_execz .LBB47_8
; %bb.7:
	s_ashr_i32 s0, s11, 31
	s_add_u32 s2, s10, s0
	s_mov_b32 s1, s0
	s_addc_u32 s3, s11, s0
	s_xor_b64 s[18:19], s[2:3], s[0:1]
	v_cvt_f32_u32_e32 v7, s18
	v_cvt_f32_u32_e32 v8, s19
	s_sub_u32 s2, 0, s18
	s_subb_u32 s3, 0, s19
	v_add_co_u32_e32 v11, vcc, 0, v5
	v_madmk_f32 v7, v8, 0x4f800000, v7
	v_rcp_f32_e32 v7, v7
	v_mul_f32_e32 v7, 0x5f7ffffc, v7
	v_mul_f32_e32 v8, 0x2f800000, v7
	v_trunc_f32_e32 v8, v8
	v_madmk_f32 v7, v8, 0xcf800000, v7
	v_cvt_u32_f32_e32 v8, v8
	v_cvt_u32_f32_e32 v7, v7
	v_readfirstlane_b32 s11, v8
	v_readfirstlane_b32 s0, v7
	s_mul_i32 s1, s2, s11
	s_mul_hi_u32 s20, s2, s0
	s_mul_i32 s17, s3, s0
	s_add_i32 s1, s20, s1
	s_add_i32 s1, s1, s17
	s_mul_i32 s21, s2, s0
	s_mul_i32 s20, s0, s1
	s_mul_hi_u32 s22, s0, s21
	s_mul_hi_u32 s17, s0, s1
	s_add_u32 s20, s22, s20
	s_addc_u32 s17, 0, s17
	s_mul_hi_u32 s23, s11, s21
	s_mul_i32 s21, s11, s21
	s_add_u32 s20, s20, s21
	s_mul_hi_u32 s22, s11, s1
	s_addc_u32 s17, s17, s23
	s_addc_u32 s20, s22, 0
	s_mul_i32 s1, s11, s1
	s_add_u32 s1, s17, s1
	s_addc_u32 s17, 0, s20
	s_add_u32 s20, s0, s1
	s_cselect_b64 s[0:1], -1, 0
	s_cmp_lg_u64 s[0:1], 0
	s_addc_u32 s11, s11, s17
	s_mul_i32 s0, s2, s11
	s_mul_hi_u32 s1, s2, s20
	s_add_i32 s0, s1, s0
	s_mul_i32 s3, s3, s20
	s_add_i32 s0, s0, s3
	s_mul_i32 s2, s2, s20
	s_mul_hi_u32 s3, s11, s2
	s_mul_i32 s17, s11, s2
	s_mul_i32 s22, s20, s0
	s_mul_hi_u32 s2, s20, s2
	s_mul_hi_u32 s21, s20, s0
	s_add_u32 s2, s2, s22
	s_addc_u32 s21, 0, s21
	s_add_u32 s2, s2, s17
	s_mul_hi_u32 s1, s11, s0
	s_addc_u32 s2, s21, s3
	s_addc_u32 s1, s1, 0
	s_mul_i32 s0, s11, s0
	s_add_u32 s0, s2, s0
	s_addc_u32 s2, 0, s1
	s_add_u32 s3, s20, s0
	s_cselect_b64 s[0:1], -1, 0
	s_cmp_lg_u64 s[0:1], 0
	s_addc_u32 s2, s11, s2
	v_mad_u64_u32 v[7:8], s[0:1], v11, s2, 0
	v_mul_hi_u32 v9, v11, s3
	v_addc_co_u32_e64 v12, s[0:1], 0, 0, vcc
	v_add_co_u32_e32 v13, vcc, v9, v7
	v_addc_co_u32_e32 v14, vcc, 0, v8, vcc
	v_mad_u64_u32 v[7:8], s[0:1], v12, s3, 0
	v_mad_u64_u32 v[9:10], s[0:1], v12, s2, 0
	v_add_co_u32_e32 v7, vcc, v13, v7
	v_addc_co_u32_e32 v7, vcc, v14, v8, vcc
	v_addc_co_u32_e32 v8, vcc, 0, v10, vcc
	v_add_co_u32_e32 v7, vcc, v7, v9
	v_addc_co_u32_e32 v8, vcc, 0, v8, vcc
	v_mul_lo_u32 v9, s19, v7
	v_mul_lo_u32 v10, s18, v8
	v_mad_u64_u32 v[7:8], s[0:1], s18, v7, 0
	v_add3_u32 v8, v8, v10, v9
	v_sub_u32_e32 v9, v12, v8
	v_mov_b32_e32 v10, s19
	v_sub_co_u32_e32 v7, vcc, v11, v7
	v_subb_co_u32_e64 v9, s[0:1], v9, v10, vcc
	v_subrev_co_u32_e64 v11, s[0:1], s18, v7
	v_subbrev_co_u32_e64 v13, s[2:3], 0, v9, s[0:1]
	v_cmp_le_u32_e64 s[2:3], s19, v13
	v_cndmask_b32_e64 v14, 0, -1, s[2:3]
	v_cmp_le_u32_e64 s[2:3], s18, v11
	v_subb_co_u32_e64 v9, s[0:1], v9, v10, s[0:1]
	v_cndmask_b32_e64 v15, 0, -1, s[2:3]
	v_cmp_eq_u32_e64 s[2:3], s19, v13
	v_subrev_co_u32_e64 v10, s[0:1], s18, v11
	v_subb_co_u32_e32 v8, vcc, v12, v8, vcc
	v_cndmask_b32_e64 v14, v14, v15, s[2:3]
	v_subbrev_co_u32_e64 v9, s[0:1], 0, v9, s[0:1]
	v_cmp_le_u32_e32 vcc, s19, v8
	v_cmp_ne_u32_e64 s[0:1], 0, v14
	v_cndmask_b32_e64 v12, 0, -1, vcc
	v_cmp_le_u32_e32 vcc, s18, v7
	v_cndmask_b32_e64 v9, v13, v9, s[0:1]
	v_cndmask_b32_e64 v13, 0, -1, vcc
	v_cmp_eq_u32_e32 vcc, s19, v8
	v_cndmask_b32_e32 v12, v12, v13, vcc
	v_cmp_ne_u32_e32 vcc, 0, v12
	v_cndmask_b32_e32 v8, v8, v9, vcc
	v_cndmask_b32_e64 v9, v11, v10, s[0:1]
	v_cndmask_b32_e32 v7, v7, v9, vcc
	v_subrev_co_u32_e32 v11, vcc, 0, v7
	v_subbrev_co_u32_e32 v12, vcc, 0, v8, vcc
.LBB47_8:
	s_andn2_saveexec_b64 s[0:1], s[14:15]
	s_cbranch_execz .LBB47_10
; %bb.9:
	v_cvt_f32_u32_e32 v7, s10
	s_sub_i32 s2, 0, s10
	v_mov_b32_e32 v12, 0
	v_rcp_iflag_f32_e32 v7, v7
	v_mul_f32_e32 v7, 0x4f7ffffe, v7
	v_cvt_u32_f32_e32 v7, v7
	v_mul_lo_u32 v8, s2, v7
	v_mul_hi_u32 v8, v7, v8
	v_add_u32_e32 v7, v7, v8
	v_mul_hi_u32 v7, v5, v7
	v_mul_lo_u32 v7, v7, s10
	v_sub_u32_e32 v7, v5, v7
	v_subrev_u32_e32 v8, s10, v7
	v_cmp_le_u32_e32 vcc, s10, v7
	v_cndmask_b32_e32 v7, v7, v8, vcc
	v_subrev_u32_e32 v8, s10, v7
	v_cmp_le_u32_e32 vcc, s10, v7
	v_cndmask_b32_e32 v11, v7, v8, vcc
.LBB47_10:
	s_or_b64 exec, exec, s[0:1]
	v_lshlrev_b64 v[5:6], 3, v[5:6]
	v_mov_b32_e32 v8, s7
	v_add_co_u32_e32 v7, vcc, s6, v5
	v_addc_co_u32_e32 v8, vcc, v8, v6, vcc
	global_load_dwordx2 v[7:8], v[7:8], off
	s_mov_b64 s[18:19], -1
	s_waitcnt vmcnt(0)
	v_subrev_co_u32_e32 v7, vcc, s16, v7
	v_subbrev_co_u32_e32 v8, vcc, 0, v8, vcc
	v_cmp_lt_i64_e32 vcc, -1, v[7:8]
	s_and_b64 exec, exec, vcc
	s_cbranch_execz .LBB47_32
; %bb.11:
	s_load_dwordx4 s[0:3], s[4:5], 0x0
	s_load_dwordx2 s[6:7], s[4:5], 0x40
                                        ; implicit-def: $vgpr9_vgpr10
	s_waitcnt lgkmcnt(0)
	s_cmp_eq_u32 s2, 1
	s_cselect_b64 s[10:11], -1, 0
	s_cmpk_eq_i32 s0, 0x6f
	s_cselect_b64 s[14:15], -1, 0
	s_cmpk_lg_i32 s0, 0x6f
	s_cselect_b64 s[16:17], -1, 0
	s_cmp_lg_u32 s2, 1
	s_cbranch_scc0 .LBB47_15
; %bb.12:
	v_mov_b32_e32 v9, v11
	s_andn2_b64 vcc, exec, s[14:15]
	v_mov_b32_e32 v10, v12
	s_cbranch_vccnz .LBB47_14
; %bb.13:
	v_mul_lo_u32 v13, v12, s6
	v_mul_lo_u32 v14, v11, s7
	v_mad_u64_u32 v[9:10], s[18:19], v11, s6, 0
	v_add3_u32 v10, v10, v14, v13
.LBB47_14:
	s_mov_b64 s[18:19], 0
.LBB47_15:
	s_andn2_b64 vcc, exec, s[18:19]
	s_cbranch_vccnz .LBB47_19
; %bb.16:
	s_andn2_b64 vcc, exec, s[16:17]
	s_cbranch_vccnz .LBB47_18
; %bb.17:
	v_mul_lo_u32 v9, v12, s6
	v_mul_lo_u32 v10, v11, s7
	v_mad_u64_u32 v[11:12], s[16:17], v11, s6, 0
	v_add3_u32 v12, v12, v10, v9
.LBB47_18:
	v_mov_b32_e32 v9, v11
	v_mov_b32_e32 v10, v12
.LBB47_19:
	s_cmp_eq_u32 s3, 1
	s_cselect_b64 s[16:17], -1, 0
	s_cmpk_eq_i32 s1, 0x6f
	s_cselect_b64 s[18:19], -1, 0
	s_cmpk_lg_i32 s1, 0x6f
	s_cselect_b64 s[0:1], -1, 0
	s_cmp_lg_u32 s3, 1
	s_cbranch_scc0 .LBB47_23
; %bb.20:
	v_mov_b32_e32 v12, v8
	s_andn2_b64 vcc, exec, s[0:1]
	v_mov_b32_e32 v11, v7
	s_cbranch_vccnz .LBB47_22
; %bb.21:
	v_mul_lo_u32 v13, v8, s12
	v_mul_lo_u32 v14, v7, s13
	v_mad_u64_u32 v[11:12], s[0:1], v7, s12, 0
	v_add3_u32 v12, v12, v14, v13
.LBB47_22:
	s_cbranch_execz .LBB47_24
	s_branch .LBB47_27
.LBB47_23:
                                        ; implicit-def: $vgpr11_vgpr12
.LBB47_24:
	s_andn2_b64 vcc, exec, s[18:19]
	s_cbranch_vccnz .LBB47_26
; %bb.25:
	v_mul_lo_u32 v11, v8, s12
	v_mul_lo_u32 v12, v7, s13
	v_mad_u64_u32 v[7:8], s[0:1], v7, s12, 0
	v_add3_u32 v8, v8, v12, v11
.LBB47_26:
	v_mov_b32_e32 v12, v8
	v_mov_b32_e32 v11, v7
.LBB47_27:
	s_load_dwordx2 s[0:1], s[4:5], 0x60
	v_cmp_lt_i64_e64 s[2:3], s[8:9], 1
	s_and_b64 vcc, exec, s[2:3]
	s_cbranch_vccnz .LBB47_30
; %bb.28:
	s_load_dwordx2 s[2:3], s[4:5], 0x48
	s_load_dwordx2 s[20:21], s[4:5], 0x38
	v_lshlrev_b64 v[7:8], 3, v[11:12]
	v_lshlrev_b64 v[9:10], 3, v[9:10]
	s_waitcnt lgkmcnt(0)
	v_mov_b32_e32 v11, s3
	v_add_co_u32_e32 v7, vcc, s2, v7
	s_xor_b64 s[2:3], s[14:15], s[10:11]
	s_and_b64 s[2:3], s[2:3], exec
	s_cselect_b32 s5, 0, s7
	s_cselect_b32 s4, 1, s6
	s_xor_b64 s[2:3], s[18:19], s[16:17]
	v_addc_co_u32_e32 v8, vcc, v11, v8, vcc
	s_and_b64 s[2:3], s[2:3], exec
	v_mov_b32_e32 v11, s21
	v_add_co_u32_e32 v9, vcc, s20, v9
	s_cselect_b32 s3, s13, 0
	s_cselect_b32 s2, s12, 1
	v_addc_co_u32_e32 v10, vcc, v11, v10, vcc
	s_lshl_b64 s[2:3], s[2:3], 3
	s_lshl_b64 s[4:5], s[4:5], 3
	v_mov_b32_e32 v11, 0
	v_mov_b32_e32 v12, 0
	;; [unrolled: 1-line block ×4, first 2 shown]
.LBB47_29:                              ; =>This Inner Loop Header: Depth=1
	global_load_dwordx2 v[15:16], v[9:10], off
	global_load_dwordx2 v[17:18], v[7:8], off
	v_add_co_u32_e32 v7, vcc, s2, v7
	s_add_u32 s8, s8, -1
	v_addc_co_u32_e32 v8, vcc, v8, v13, vcc
	v_add_co_u32_e32 v9, vcc, s4, v9
	s_addc_u32 s9, s9, -1
	s_cmp_eq_u64 s[8:9], 0
	v_addc_co_u32_e32 v10, vcc, v10, v14, vcc
	s_waitcnt vmcnt(0)
	v_fma_f64 v[11:12], v[15:16], v[17:18], v[11:12]
	s_cbranch_scc0 .LBB47_29
	s_branch .LBB47_31
.LBB47_30:
	v_mov_b32_e32 v11, 0
	v_mov_b32_e32 v12, 0
.LBB47_31:
	s_waitcnt lgkmcnt(0)
	v_mov_b32_e32 v7, s1
	v_add_co_u32_e32 v5, vcc, s0, v5
	v_lshlrev_b32_e32 v0, 3, v0
	v_addc_co_u32_e32 v6, vcc, v7, v6, vcc
	ds_write_b64 v0, v[11:12]
	s_waitcnt lgkmcnt(0)
	s_barrier
	global_load_dwordx2 v[7:8], v[5:6], off
	ds_read_b64 v[9:10], v0
	s_waitcnt lgkmcnt(0)
	v_mul_f64 v[0:1], v[1:2], v[9:10]
	s_waitcnt vmcnt(0)
	v_fma_f64 v[0:1], v[3:4], v[7:8], v[0:1]
	global_store_dwordx2 v[5:6], v[0:1], off
.LBB47_32:
	s_endpgm
	.section	.rodata,"a",@progbits
	.p2align	6, 0x0
	.amdhsa_kernel _ZN9rocsparseL16sddmm_ell_kernelILi512ELi1EdlldddEEv20rocsparse_operation_S1_16rocsparse_order_S2_T3_S3_S3_T2_NS_24const_host_device_scalarIT1_EEPKT4_lPKT5_lS7_PT6_PKS3_21rocsparse_index_base_b
		.amdhsa_group_segment_fixed_size 4096
		.amdhsa_private_segment_fixed_size 0
		.amdhsa_kernarg_size 120
		.amdhsa_user_sgpr_count 6
		.amdhsa_user_sgpr_private_segment_buffer 1
		.amdhsa_user_sgpr_dispatch_ptr 0
		.amdhsa_user_sgpr_queue_ptr 0
		.amdhsa_user_sgpr_kernarg_segment_ptr 1
		.amdhsa_user_sgpr_dispatch_id 0
		.amdhsa_user_sgpr_flat_scratch_init 0
		.amdhsa_user_sgpr_private_segment_size 0
		.amdhsa_uses_dynamic_stack 0
		.amdhsa_system_sgpr_private_segment_wavefront_offset 0
		.amdhsa_system_sgpr_workgroup_id_x 1
		.amdhsa_system_sgpr_workgroup_id_y 0
		.amdhsa_system_sgpr_workgroup_id_z 0
		.amdhsa_system_sgpr_workgroup_info 0
		.amdhsa_system_vgpr_workitem_id 0
		.amdhsa_next_free_vgpr 19
		.amdhsa_next_free_sgpr 24
		.amdhsa_reserve_vcc 1
		.amdhsa_reserve_flat_scratch 0
		.amdhsa_float_round_mode_32 0
		.amdhsa_float_round_mode_16_64 0
		.amdhsa_float_denorm_mode_32 3
		.amdhsa_float_denorm_mode_16_64 3
		.amdhsa_dx10_clamp 1
		.amdhsa_ieee_mode 1
		.amdhsa_fp16_overflow 0
		.amdhsa_exception_fp_ieee_invalid_op 0
		.amdhsa_exception_fp_denorm_src 0
		.amdhsa_exception_fp_ieee_div_zero 0
		.amdhsa_exception_fp_ieee_overflow 0
		.amdhsa_exception_fp_ieee_underflow 0
		.amdhsa_exception_fp_ieee_inexact 0
		.amdhsa_exception_int_div_zero 0
	.end_amdhsa_kernel
	.section	.text._ZN9rocsparseL16sddmm_ell_kernelILi512ELi1EdlldddEEv20rocsparse_operation_S1_16rocsparse_order_S2_T3_S3_S3_T2_NS_24const_host_device_scalarIT1_EEPKT4_lPKT5_lS7_PT6_PKS3_21rocsparse_index_base_b,"axG",@progbits,_ZN9rocsparseL16sddmm_ell_kernelILi512ELi1EdlldddEEv20rocsparse_operation_S1_16rocsparse_order_S2_T3_S3_S3_T2_NS_24const_host_device_scalarIT1_EEPKT4_lPKT5_lS7_PT6_PKS3_21rocsparse_index_base_b,comdat
.Lfunc_end47:
	.size	_ZN9rocsparseL16sddmm_ell_kernelILi512ELi1EdlldddEEv20rocsparse_operation_S1_16rocsparse_order_S2_T3_S3_S3_T2_NS_24const_host_device_scalarIT1_EEPKT4_lPKT5_lS7_PT6_PKS3_21rocsparse_index_base_b, .Lfunc_end47-_ZN9rocsparseL16sddmm_ell_kernelILi512ELi1EdlldddEEv20rocsparse_operation_S1_16rocsparse_order_S2_T3_S3_S3_T2_NS_24const_host_device_scalarIT1_EEPKT4_lPKT5_lS7_PT6_PKS3_21rocsparse_index_base_b
                                        ; -- End function
	.set _ZN9rocsparseL16sddmm_ell_kernelILi512ELi1EdlldddEEv20rocsparse_operation_S1_16rocsparse_order_S2_T3_S3_S3_T2_NS_24const_host_device_scalarIT1_EEPKT4_lPKT5_lS7_PT6_PKS3_21rocsparse_index_base_b.num_vgpr, 19
	.set _ZN9rocsparseL16sddmm_ell_kernelILi512ELi1EdlldddEEv20rocsparse_operation_S1_16rocsparse_order_S2_T3_S3_S3_T2_NS_24const_host_device_scalarIT1_EEPKT4_lPKT5_lS7_PT6_PKS3_21rocsparse_index_base_b.num_agpr, 0
	.set _ZN9rocsparseL16sddmm_ell_kernelILi512ELi1EdlldddEEv20rocsparse_operation_S1_16rocsparse_order_S2_T3_S3_S3_T2_NS_24const_host_device_scalarIT1_EEPKT4_lPKT5_lS7_PT6_PKS3_21rocsparse_index_base_b.numbered_sgpr, 24
	.set _ZN9rocsparseL16sddmm_ell_kernelILi512ELi1EdlldddEEv20rocsparse_operation_S1_16rocsparse_order_S2_T3_S3_S3_T2_NS_24const_host_device_scalarIT1_EEPKT4_lPKT5_lS7_PT6_PKS3_21rocsparse_index_base_b.num_named_barrier, 0
	.set _ZN9rocsparseL16sddmm_ell_kernelILi512ELi1EdlldddEEv20rocsparse_operation_S1_16rocsparse_order_S2_T3_S3_S3_T2_NS_24const_host_device_scalarIT1_EEPKT4_lPKT5_lS7_PT6_PKS3_21rocsparse_index_base_b.private_seg_size, 0
	.set _ZN9rocsparseL16sddmm_ell_kernelILi512ELi1EdlldddEEv20rocsparse_operation_S1_16rocsparse_order_S2_T3_S3_S3_T2_NS_24const_host_device_scalarIT1_EEPKT4_lPKT5_lS7_PT6_PKS3_21rocsparse_index_base_b.uses_vcc, 1
	.set _ZN9rocsparseL16sddmm_ell_kernelILi512ELi1EdlldddEEv20rocsparse_operation_S1_16rocsparse_order_S2_T3_S3_S3_T2_NS_24const_host_device_scalarIT1_EEPKT4_lPKT5_lS7_PT6_PKS3_21rocsparse_index_base_b.uses_flat_scratch, 0
	.set _ZN9rocsparseL16sddmm_ell_kernelILi512ELi1EdlldddEEv20rocsparse_operation_S1_16rocsparse_order_S2_T3_S3_S3_T2_NS_24const_host_device_scalarIT1_EEPKT4_lPKT5_lS7_PT6_PKS3_21rocsparse_index_base_b.has_dyn_sized_stack, 0
	.set _ZN9rocsparseL16sddmm_ell_kernelILi512ELi1EdlldddEEv20rocsparse_operation_S1_16rocsparse_order_S2_T3_S3_S3_T2_NS_24const_host_device_scalarIT1_EEPKT4_lPKT5_lS7_PT6_PKS3_21rocsparse_index_base_b.has_recursion, 0
	.set _ZN9rocsparseL16sddmm_ell_kernelILi512ELi1EdlldddEEv20rocsparse_operation_S1_16rocsparse_order_S2_T3_S3_S3_T2_NS_24const_host_device_scalarIT1_EEPKT4_lPKT5_lS7_PT6_PKS3_21rocsparse_index_base_b.has_indirect_call, 0
	.section	.AMDGPU.csdata,"",@progbits
; Kernel info:
; codeLenInByte = 1556
; TotalNumSgprs: 28
; NumVgprs: 19
; ScratchSize: 0
; MemoryBound: 0
; FloatMode: 240
; IeeeMode: 1
; LDSByteSize: 4096 bytes/workgroup (compile time only)
; SGPRBlocks: 3
; VGPRBlocks: 4
; NumSGPRsForWavesPerEU: 28
; NumVGPRsForWavesPerEU: 19
; Occupancy: 10
; WaveLimiterHint : 0
; COMPUTE_PGM_RSRC2:SCRATCH_EN: 0
; COMPUTE_PGM_RSRC2:USER_SGPR: 6
; COMPUTE_PGM_RSRC2:TRAP_HANDLER: 0
; COMPUTE_PGM_RSRC2:TGID_X_EN: 1
; COMPUTE_PGM_RSRC2:TGID_Y_EN: 0
; COMPUTE_PGM_RSRC2:TGID_Z_EN: 0
; COMPUTE_PGM_RSRC2:TIDIG_COMP_CNT: 0
	.section	.text._ZN9rocsparseL23sddmm_ell_sample_kernelILi16ELi32E21rocsparse_complex_numIfElS2_EEvT2_S3_PKT3_lS3_PS4_PKS3_21rocsparse_index_base_,"axG",@progbits,_ZN9rocsparseL23sddmm_ell_sample_kernelILi16ELi32E21rocsparse_complex_numIfElS2_EEvT2_S3_PKT3_lS3_PS4_PKS3_21rocsparse_index_base_,comdat
	.globl	_ZN9rocsparseL23sddmm_ell_sample_kernelILi16ELi32E21rocsparse_complex_numIfElS2_EEvT2_S3_PKT3_lS3_PS4_PKS3_21rocsparse_index_base_ ; -- Begin function _ZN9rocsparseL23sddmm_ell_sample_kernelILi16ELi32E21rocsparse_complex_numIfElS2_EEvT2_S3_PKT3_lS3_PS4_PKS3_21rocsparse_index_base_
	.p2align	8
	.type	_ZN9rocsparseL23sddmm_ell_sample_kernelILi16ELi32E21rocsparse_complex_numIfElS2_EEvT2_S3_PKT3_lS3_PS4_PKS3_21rocsparse_index_base_,@function
_ZN9rocsparseL23sddmm_ell_sample_kernelILi16ELi32E21rocsparse_complex_numIfElS2_EEvT2_S3_PKT3_lS3_PS4_PKS3_21rocsparse_index_base_: ; @_ZN9rocsparseL23sddmm_ell_sample_kernelILi16ELi32E21rocsparse_complex_numIfElS2_EEvT2_S3_PKT3_lS3_PS4_PKS3_21rocsparse_index_base_
; %bb.0:
	s_load_dwordx4 s[0:3], s[4:5], 0x18
	v_lshrrev_b32_e32 v1, 5, v0
	v_lshl_or_b32 v2, s6, 4, v1
	v_mov_b32_e32 v1, 0
	v_mov_b32_e32 v3, v1
	s_waitcnt lgkmcnt(0)
	v_cmp_gt_i64_e32 vcc, s[2:3], v[2:3]
	s_and_saveexec_b64 s[2:3], vcc
	s_cbranch_execz .LBB48_6
; %bb.1:
	s_load_dwordx4 s[8:11], s[4:5], 0x0
	v_and_b32_e32 v0, 31, v0
	s_waitcnt lgkmcnt(0)
	v_cmp_gt_i64_e32 vcc, s[8:9], v[0:1]
	s_and_b64 exec, exec, vcc
	s_cbranch_execz .LBB48_6
; %bb.2:
	v_mad_u64_u32 v[3:4], s[2:3], s8, v2, v[0:1]
	s_load_dwordx4 s[12:15], s[4:5], 0x28
	s_load_dwordx2 s[16:17], s[4:5], 0x10
	s_load_dword s6, s[4:5], 0x38
	v_mad_u64_u32 v[4:5], s[2:3], s9, v2, v[4:5]
	s_lshl_b64 s[2:3], s[0:1], 3
	s_waitcnt lgkmcnt(0)
	v_mov_b32_e32 v6, s15
	v_lshlrev_b64 v[4:5], 3, v[3:4]
	v_mov_b32_e32 v7, s17
	v_add_co_u32_e32 v2, vcc, s14, v4
	v_addc_co_u32_e32 v3, vcc, v6, v5, vcc
	v_mov_b32_e32 v6, s13
	v_add_co_u32_e32 v4, vcc, s12, v4
	v_addc_co_u32_e32 v5, vcc, v6, v5, vcc
	v_lshlrev_b32_e32 v6, 3, v0
	v_add_co_u32_e32 v6, vcc, s16, v6
	v_addc_co_u32_e32 v7, vcc, 0, v7, vcc
	s_mov_b64 s[4:5], 0
	s_branch .LBB48_4
.LBB48_3:                               ;   in Loop: Header=BB48_4 Depth=1
	s_or_b64 exec, exec, s[0:1]
	v_add_co_u32_e32 v0, vcc, 32, v0
	v_addc_co_u32_e32 v1, vcc, 0, v1, vcc
	v_add_co_u32_e32 v2, vcc, 0x100, v2
	v_addc_co_u32_e32 v3, vcc, 0, v3, vcc
	;; [unrolled: 2-line block ×3, first 2 shown]
	v_cmp_le_i64_e64 s[0:1], s[8:9], v[0:1]
	v_add_co_u32_e32 v6, vcc, 0x100, v6
	s_or_b64 s[4:5], s[0:1], s[4:5]
	v_addc_co_u32_e32 v7, vcc, 0, v7, vcc
	s_andn2_b64 exec, exec, s[4:5]
	s_cbranch_execz .LBB48_6
.LBB48_4:                               ; =>This Inner Loop Header: Depth=1
	global_load_dwordx2 v[8:9], v[2:3], off
	s_waitcnt vmcnt(0)
	v_subrev_co_u32_e32 v8, vcc, s6, v8
	v_subbrev_co_u32_e32 v9, vcc, 0, v9, vcc
	v_cmp_lt_i64_e32 vcc, -1, v[8:9]
	v_cmp_gt_i64_e64 s[0:1], s[10:11], v[8:9]
	s_and_b64 s[12:13], vcc, s[0:1]
	s_and_saveexec_b64 s[0:1], s[12:13]
	s_cbranch_execz .LBB48_3
; %bb.5:                                ;   in Loop: Header=BB48_4 Depth=1
	v_mad_u64_u32 v[10:11], s[12:13], s2, v8, v[6:7]
	v_mul_lo_u32 v9, s2, v9
	v_mul_lo_u32 v8, s3, v8
	v_add3_u32 v11, v8, v11, v9
	global_load_dwordx2 v[8:9], v[10:11], off
	s_waitcnt vmcnt(0)
	global_store_dwordx2 v[4:5], v[8:9], off
	s_branch .LBB48_3
.LBB48_6:
	s_endpgm
	.section	.rodata,"a",@progbits
	.p2align	6, 0x0
	.amdhsa_kernel _ZN9rocsparseL23sddmm_ell_sample_kernelILi16ELi32E21rocsparse_complex_numIfElS2_EEvT2_S3_PKT3_lS3_PS4_PKS3_21rocsparse_index_base_
		.amdhsa_group_segment_fixed_size 0
		.amdhsa_private_segment_fixed_size 0
		.amdhsa_kernarg_size 60
		.amdhsa_user_sgpr_count 6
		.amdhsa_user_sgpr_private_segment_buffer 1
		.amdhsa_user_sgpr_dispatch_ptr 0
		.amdhsa_user_sgpr_queue_ptr 0
		.amdhsa_user_sgpr_kernarg_segment_ptr 1
		.amdhsa_user_sgpr_dispatch_id 0
		.amdhsa_user_sgpr_flat_scratch_init 0
		.amdhsa_user_sgpr_private_segment_size 0
		.amdhsa_uses_dynamic_stack 0
		.amdhsa_system_sgpr_private_segment_wavefront_offset 0
		.amdhsa_system_sgpr_workgroup_id_x 1
		.amdhsa_system_sgpr_workgroup_id_y 0
		.amdhsa_system_sgpr_workgroup_id_z 0
		.amdhsa_system_sgpr_workgroup_info 0
		.amdhsa_system_vgpr_workitem_id 0
		.amdhsa_next_free_vgpr 12
		.amdhsa_next_free_sgpr 18
		.amdhsa_reserve_vcc 1
		.amdhsa_reserve_flat_scratch 0
		.amdhsa_float_round_mode_32 0
		.amdhsa_float_round_mode_16_64 0
		.amdhsa_float_denorm_mode_32 3
		.amdhsa_float_denorm_mode_16_64 3
		.amdhsa_dx10_clamp 1
		.amdhsa_ieee_mode 1
		.amdhsa_fp16_overflow 0
		.amdhsa_exception_fp_ieee_invalid_op 0
		.amdhsa_exception_fp_denorm_src 0
		.amdhsa_exception_fp_ieee_div_zero 0
		.amdhsa_exception_fp_ieee_overflow 0
		.amdhsa_exception_fp_ieee_underflow 0
		.amdhsa_exception_fp_ieee_inexact 0
		.amdhsa_exception_int_div_zero 0
	.end_amdhsa_kernel
	.section	.text._ZN9rocsparseL23sddmm_ell_sample_kernelILi16ELi32E21rocsparse_complex_numIfElS2_EEvT2_S3_PKT3_lS3_PS4_PKS3_21rocsparse_index_base_,"axG",@progbits,_ZN9rocsparseL23sddmm_ell_sample_kernelILi16ELi32E21rocsparse_complex_numIfElS2_EEvT2_S3_PKT3_lS3_PS4_PKS3_21rocsparse_index_base_,comdat
.Lfunc_end48:
	.size	_ZN9rocsparseL23sddmm_ell_sample_kernelILi16ELi32E21rocsparse_complex_numIfElS2_EEvT2_S3_PKT3_lS3_PS4_PKS3_21rocsparse_index_base_, .Lfunc_end48-_ZN9rocsparseL23sddmm_ell_sample_kernelILi16ELi32E21rocsparse_complex_numIfElS2_EEvT2_S3_PKT3_lS3_PS4_PKS3_21rocsparse_index_base_
                                        ; -- End function
	.set _ZN9rocsparseL23sddmm_ell_sample_kernelILi16ELi32E21rocsparse_complex_numIfElS2_EEvT2_S3_PKT3_lS3_PS4_PKS3_21rocsparse_index_base_.num_vgpr, 12
	.set _ZN9rocsparseL23sddmm_ell_sample_kernelILi16ELi32E21rocsparse_complex_numIfElS2_EEvT2_S3_PKT3_lS3_PS4_PKS3_21rocsparse_index_base_.num_agpr, 0
	.set _ZN9rocsparseL23sddmm_ell_sample_kernelILi16ELi32E21rocsparse_complex_numIfElS2_EEvT2_S3_PKT3_lS3_PS4_PKS3_21rocsparse_index_base_.numbered_sgpr, 18
	.set _ZN9rocsparseL23sddmm_ell_sample_kernelILi16ELi32E21rocsparse_complex_numIfElS2_EEvT2_S3_PKT3_lS3_PS4_PKS3_21rocsparse_index_base_.num_named_barrier, 0
	.set _ZN9rocsparseL23sddmm_ell_sample_kernelILi16ELi32E21rocsparse_complex_numIfElS2_EEvT2_S3_PKT3_lS3_PS4_PKS3_21rocsparse_index_base_.private_seg_size, 0
	.set _ZN9rocsparseL23sddmm_ell_sample_kernelILi16ELi32E21rocsparse_complex_numIfElS2_EEvT2_S3_PKT3_lS3_PS4_PKS3_21rocsparse_index_base_.uses_vcc, 1
	.set _ZN9rocsparseL23sddmm_ell_sample_kernelILi16ELi32E21rocsparse_complex_numIfElS2_EEvT2_S3_PKT3_lS3_PS4_PKS3_21rocsparse_index_base_.uses_flat_scratch, 0
	.set _ZN9rocsparseL23sddmm_ell_sample_kernelILi16ELi32E21rocsparse_complex_numIfElS2_EEvT2_S3_PKT3_lS3_PS4_PKS3_21rocsparse_index_base_.has_dyn_sized_stack, 0
	.set _ZN9rocsparseL23sddmm_ell_sample_kernelILi16ELi32E21rocsparse_complex_numIfElS2_EEvT2_S3_PKT3_lS3_PS4_PKS3_21rocsparse_index_base_.has_recursion, 0
	.set _ZN9rocsparseL23sddmm_ell_sample_kernelILi16ELi32E21rocsparse_complex_numIfElS2_EEvT2_S3_PKT3_lS3_PS4_PKS3_21rocsparse_index_base_.has_indirect_call, 0
	.section	.AMDGPU.csdata,"",@progbits
; Kernel info:
; codeLenInByte = 348
; TotalNumSgprs: 22
; NumVgprs: 12
; ScratchSize: 0
; MemoryBound: 0
; FloatMode: 240
; IeeeMode: 1
; LDSByteSize: 0 bytes/workgroup (compile time only)
; SGPRBlocks: 2
; VGPRBlocks: 2
; NumSGPRsForWavesPerEU: 22
; NumVGPRsForWavesPerEU: 12
; Occupancy: 10
; WaveLimiterHint : 1
; COMPUTE_PGM_RSRC2:SCRATCH_EN: 0
; COMPUTE_PGM_RSRC2:USER_SGPR: 6
; COMPUTE_PGM_RSRC2:TRAP_HANDLER: 0
; COMPUTE_PGM_RSRC2:TGID_X_EN: 1
; COMPUTE_PGM_RSRC2:TGID_Y_EN: 0
; COMPUTE_PGM_RSRC2:TGID_Z_EN: 0
; COMPUTE_PGM_RSRC2:TIDIG_COMP_CNT: 0
	.section	.text._ZN9rocsparseL23sddmm_ell_sample_kernelILi16ELi64E21rocsparse_complex_numIfElS2_EEvT2_S3_PKT3_lS3_PS4_PKS3_21rocsparse_index_base_,"axG",@progbits,_ZN9rocsparseL23sddmm_ell_sample_kernelILi16ELi64E21rocsparse_complex_numIfElS2_EEvT2_S3_PKT3_lS3_PS4_PKS3_21rocsparse_index_base_,comdat
	.globl	_ZN9rocsparseL23sddmm_ell_sample_kernelILi16ELi64E21rocsparse_complex_numIfElS2_EEvT2_S3_PKT3_lS3_PS4_PKS3_21rocsparse_index_base_ ; -- Begin function _ZN9rocsparseL23sddmm_ell_sample_kernelILi16ELi64E21rocsparse_complex_numIfElS2_EEvT2_S3_PKT3_lS3_PS4_PKS3_21rocsparse_index_base_
	.p2align	8
	.type	_ZN9rocsparseL23sddmm_ell_sample_kernelILi16ELi64E21rocsparse_complex_numIfElS2_EEvT2_S3_PKT3_lS3_PS4_PKS3_21rocsparse_index_base_,@function
_ZN9rocsparseL23sddmm_ell_sample_kernelILi16ELi64E21rocsparse_complex_numIfElS2_EEvT2_S3_PKT3_lS3_PS4_PKS3_21rocsparse_index_base_: ; @_ZN9rocsparseL23sddmm_ell_sample_kernelILi16ELi64E21rocsparse_complex_numIfElS2_EEvT2_S3_PKT3_lS3_PS4_PKS3_21rocsparse_index_base_
; %bb.0:
	s_load_dwordx4 s[0:3], s[4:5], 0x18
	v_lshrrev_b32_e32 v1, 6, v0
	v_lshl_or_b32 v2, s6, 4, v1
	v_mov_b32_e32 v1, 0
	v_mov_b32_e32 v3, v1
	s_waitcnt lgkmcnt(0)
	v_cmp_gt_i64_e32 vcc, s[2:3], v[2:3]
	s_and_saveexec_b64 s[2:3], vcc
	s_cbranch_execz .LBB49_6
; %bb.1:
	s_load_dwordx4 s[8:11], s[4:5], 0x0
	v_and_b32_e32 v0, 63, v0
	s_waitcnt lgkmcnt(0)
	v_cmp_gt_i64_e32 vcc, s[8:9], v[0:1]
	s_and_b64 exec, exec, vcc
	s_cbranch_execz .LBB49_6
; %bb.2:
	v_mad_u64_u32 v[3:4], s[2:3], s8, v2, v[0:1]
	s_load_dwordx4 s[12:15], s[4:5], 0x28
	s_load_dwordx2 s[16:17], s[4:5], 0x10
	s_load_dword s6, s[4:5], 0x38
	v_mad_u64_u32 v[4:5], s[2:3], s9, v2, v[4:5]
	s_lshl_b64 s[2:3], s[0:1], 3
	s_waitcnt lgkmcnt(0)
	v_mov_b32_e32 v6, s15
	v_lshlrev_b64 v[4:5], 3, v[3:4]
	v_mov_b32_e32 v7, s17
	v_add_co_u32_e32 v2, vcc, s14, v4
	v_addc_co_u32_e32 v3, vcc, v6, v5, vcc
	v_mov_b32_e32 v6, s13
	v_add_co_u32_e32 v4, vcc, s12, v4
	v_addc_co_u32_e32 v5, vcc, v6, v5, vcc
	v_lshlrev_b32_e32 v6, 3, v0
	v_add_co_u32_e32 v6, vcc, s16, v6
	v_addc_co_u32_e32 v7, vcc, 0, v7, vcc
	s_mov_b64 s[4:5], 0
	s_branch .LBB49_4
.LBB49_3:                               ;   in Loop: Header=BB49_4 Depth=1
	s_or_b64 exec, exec, s[0:1]
	v_add_co_u32_e32 v0, vcc, 64, v0
	v_addc_co_u32_e32 v1, vcc, 0, v1, vcc
	v_add_co_u32_e32 v2, vcc, 0x200, v2
	v_addc_co_u32_e32 v3, vcc, 0, v3, vcc
	;; [unrolled: 2-line block ×3, first 2 shown]
	v_cmp_le_i64_e64 s[0:1], s[8:9], v[0:1]
	v_add_co_u32_e32 v6, vcc, 0x200, v6
	s_or_b64 s[4:5], s[0:1], s[4:5]
	v_addc_co_u32_e32 v7, vcc, 0, v7, vcc
	s_andn2_b64 exec, exec, s[4:5]
	s_cbranch_execz .LBB49_6
.LBB49_4:                               ; =>This Inner Loop Header: Depth=1
	global_load_dwordx2 v[8:9], v[2:3], off
	s_waitcnt vmcnt(0)
	v_subrev_co_u32_e32 v8, vcc, s6, v8
	v_subbrev_co_u32_e32 v9, vcc, 0, v9, vcc
	v_cmp_lt_i64_e32 vcc, -1, v[8:9]
	v_cmp_gt_i64_e64 s[0:1], s[10:11], v[8:9]
	s_and_b64 s[12:13], vcc, s[0:1]
	s_and_saveexec_b64 s[0:1], s[12:13]
	s_cbranch_execz .LBB49_3
; %bb.5:                                ;   in Loop: Header=BB49_4 Depth=1
	v_mad_u64_u32 v[10:11], s[12:13], s2, v8, v[6:7]
	v_mul_lo_u32 v9, s2, v9
	v_mul_lo_u32 v8, s3, v8
	v_add3_u32 v11, v8, v11, v9
	global_load_dwordx2 v[8:9], v[10:11], off
	s_waitcnt vmcnt(0)
	global_store_dwordx2 v[4:5], v[8:9], off
	s_branch .LBB49_3
.LBB49_6:
	s_endpgm
	.section	.rodata,"a",@progbits
	.p2align	6, 0x0
	.amdhsa_kernel _ZN9rocsparseL23sddmm_ell_sample_kernelILi16ELi64E21rocsparse_complex_numIfElS2_EEvT2_S3_PKT3_lS3_PS4_PKS3_21rocsparse_index_base_
		.amdhsa_group_segment_fixed_size 0
		.amdhsa_private_segment_fixed_size 0
		.amdhsa_kernarg_size 60
		.amdhsa_user_sgpr_count 6
		.amdhsa_user_sgpr_private_segment_buffer 1
		.amdhsa_user_sgpr_dispatch_ptr 0
		.amdhsa_user_sgpr_queue_ptr 0
		.amdhsa_user_sgpr_kernarg_segment_ptr 1
		.amdhsa_user_sgpr_dispatch_id 0
		.amdhsa_user_sgpr_flat_scratch_init 0
		.amdhsa_user_sgpr_private_segment_size 0
		.amdhsa_uses_dynamic_stack 0
		.amdhsa_system_sgpr_private_segment_wavefront_offset 0
		.amdhsa_system_sgpr_workgroup_id_x 1
		.amdhsa_system_sgpr_workgroup_id_y 0
		.amdhsa_system_sgpr_workgroup_id_z 0
		.amdhsa_system_sgpr_workgroup_info 0
		.amdhsa_system_vgpr_workitem_id 0
		.amdhsa_next_free_vgpr 12
		.amdhsa_next_free_sgpr 18
		.amdhsa_reserve_vcc 1
		.amdhsa_reserve_flat_scratch 0
		.amdhsa_float_round_mode_32 0
		.amdhsa_float_round_mode_16_64 0
		.amdhsa_float_denorm_mode_32 3
		.amdhsa_float_denorm_mode_16_64 3
		.amdhsa_dx10_clamp 1
		.amdhsa_ieee_mode 1
		.amdhsa_fp16_overflow 0
		.amdhsa_exception_fp_ieee_invalid_op 0
		.amdhsa_exception_fp_denorm_src 0
		.amdhsa_exception_fp_ieee_div_zero 0
		.amdhsa_exception_fp_ieee_overflow 0
		.amdhsa_exception_fp_ieee_underflow 0
		.amdhsa_exception_fp_ieee_inexact 0
		.amdhsa_exception_int_div_zero 0
	.end_amdhsa_kernel
	.section	.text._ZN9rocsparseL23sddmm_ell_sample_kernelILi16ELi64E21rocsparse_complex_numIfElS2_EEvT2_S3_PKT3_lS3_PS4_PKS3_21rocsparse_index_base_,"axG",@progbits,_ZN9rocsparseL23sddmm_ell_sample_kernelILi16ELi64E21rocsparse_complex_numIfElS2_EEvT2_S3_PKT3_lS3_PS4_PKS3_21rocsparse_index_base_,comdat
.Lfunc_end49:
	.size	_ZN9rocsparseL23sddmm_ell_sample_kernelILi16ELi64E21rocsparse_complex_numIfElS2_EEvT2_S3_PKT3_lS3_PS4_PKS3_21rocsparse_index_base_, .Lfunc_end49-_ZN9rocsparseL23sddmm_ell_sample_kernelILi16ELi64E21rocsparse_complex_numIfElS2_EEvT2_S3_PKT3_lS3_PS4_PKS3_21rocsparse_index_base_
                                        ; -- End function
	.set _ZN9rocsparseL23sddmm_ell_sample_kernelILi16ELi64E21rocsparse_complex_numIfElS2_EEvT2_S3_PKT3_lS3_PS4_PKS3_21rocsparse_index_base_.num_vgpr, 12
	.set _ZN9rocsparseL23sddmm_ell_sample_kernelILi16ELi64E21rocsparse_complex_numIfElS2_EEvT2_S3_PKT3_lS3_PS4_PKS3_21rocsparse_index_base_.num_agpr, 0
	.set _ZN9rocsparseL23sddmm_ell_sample_kernelILi16ELi64E21rocsparse_complex_numIfElS2_EEvT2_S3_PKT3_lS3_PS4_PKS3_21rocsparse_index_base_.numbered_sgpr, 18
	.set _ZN9rocsparseL23sddmm_ell_sample_kernelILi16ELi64E21rocsparse_complex_numIfElS2_EEvT2_S3_PKT3_lS3_PS4_PKS3_21rocsparse_index_base_.num_named_barrier, 0
	.set _ZN9rocsparseL23sddmm_ell_sample_kernelILi16ELi64E21rocsparse_complex_numIfElS2_EEvT2_S3_PKT3_lS3_PS4_PKS3_21rocsparse_index_base_.private_seg_size, 0
	.set _ZN9rocsparseL23sddmm_ell_sample_kernelILi16ELi64E21rocsparse_complex_numIfElS2_EEvT2_S3_PKT3_lS3_PS4_PKS3_21rocsparse_index_base_.uses_vcc, 1
	.set _ZN9rocsparseL23sddmm_ell_sample_kernelILi16ELi64E21rocsparse_complex_numIfElS2_EEvT2_S3_PKT3_lS3_PS4_PKS3_21rocsparse_index_base_.uses_flat_scratch, 0
	.set _ZN9rocsparseL23sddmm_ell_sample_kernelILi16ELi64E21rocsparse_complex_numIfElS2_EEvT2_S3_PKT3_lS3_PS4_PKS3_21rocsparse_index_base_.has_dyn_sized_stack, 0
	.set _ZN9rocsparseL23sddmm_ell_sample_kernelILi16ELi64E21rocsparse_complex_numIfElS2_EEvT2_S3_PKT3_lS3_PS4_PKS3_21rocsparse_index_base_.has_recursion, 0
	.set _ZN9rocsparseL23sddmm_ell_sample_kernelILi16ELi64E21rocsparse_complex_numIfElS2_EEvT2_S3_PKT3_lS3_PS4_PKS3_21rocsparse_index_base_.has_indirect_call, 0
	.section	.AMDGPU.csdata,"",@progbits
; Kernel info:
; codeLenInByte = 348
; TotalNumSgprs: 22
; NumVgprs: 12
; ScratchSize: 0
; MemoryBound: 0
; FloatMode: 240
; IeeeMode: 1
; LDSByteSize: 0 bytes/workgroup (compile time only)
; SGPRBlocks: 2
; VGPRBlocks: 2
; NumSGPRsForWavesPerEU: 22
; NumVGPRsForWavesPerEU: 12
; Occupancy: 10
; WaveLimiterHint : 1
; COMPUTE_PGM_RSRC2:SCRATCH_EN: 0
; COMPUTE_PGM_RSRC2:USER_SGPR: 6
; COMPUTE_PGM_RSRC2:TRAP_HANDLER: 0
; COMPUTE_PGM_RSRC2:TGID_X_EN: 1
; COMPUTE_PGM_RSRC2:TGID_Y_EN: 0
; COMPUTE_PGM_RSRC2:TGID_Z_EN: 0
; COMPUTE_PGM_RSRC2:TIDIG_COMP_CNT: 0
	.section	.text._ZN9rocsparseL16sddmm_ell_kernelILi512ELi8E21rocsparse_complex_numIfEllS2_S2_S2_EEv20rocsparse_operation_S3_16rocsparse_order_S4_T3_S5_S5_T2_NS_24const_host_device_scalarIT1_EEPKT4_lPKT5_lS9_PT6_PKS5_21rocsparse_index_base_b,"axG",@progbits,_ZN9rocsparseL16sddmm_ell_kernelILi512ELi8E21rocsparse_complex_numIfEllS2_S2_S2_EEv20rocsparse_operation_S3_16rocsparse_order_S4_T3_S5_S5_T2_NS_24const_host_device_scalarIT1_EEPKT4_lPKT5_lS9_PT6_PKS5_21rocsparse_index_base_b,comdat
	.globl	_ZN9rocsparseL16sddmm_ell_kernelILi512ELi8E21rocsparse_complex_numIfEllS2_S2_S2_EEv20rocsparse_operation_S3_16rocsparse_order_S4_T3_S5_S5_T2_NS_24const_host_device_scalarIT1_EEPKT4_lPKT5_lS9_PT6_PKS5_21rocsparse_index_base_b ; -- Begin function _ZN9rocsparseL16sddmm_ell_kernelILi512ELi8E21rocsparse_complex_numIfEllS2_S2_S2_EEv20rocsparse_operation_S3_16rocsparse_order_S4_T3_S5_S5_T2_NS_24const_host_device_scalarIT1_EEPKT4_lPKT5_lS9_PT6_PKS5_21rocsparse_index_base_b
	.p2align	8
	.type	_ZN9rocsparseL16sddmm_ell_kernelILi512ELi8E21rocsparse_complex_numIfEllS2_S2_S2_EEv20rocsparse_operation_S3_16rocsparse_order_S4_T3_S5_S5_T2_NS_24const_host_device_scalarIT1_EEPKT4_lPKT5_lS9_PT6_PKS5_21rocsparse_index_base_b,@function
_ZN9rocsparseL16sddmm_ell_kernelILi512ELi8E21rocsparse_complex_numIfEllS2_S2_S2_EEv20rocsparse_operation_S3_16rocsparse_order_S4_T3_S5_S5_T2_NS_24const_host_device_scalarIT1_EEPKT4_lPKT5_lS9_PT6_PKS5_21rocsparse_index_base_b: ; @_ZN9rocsparseL16sddmm_ell_kernelILi512ELi8E21rocsparse_complex_numIfEllS2_S2_S2_EEv20rocsparse_operation_S3_16rocsparse_order_S4_T3_S5_S5_T2_NS_24const_host_device_scalarIT1_EEPKT4_lPKT5_lS9_PT6_PKS5_21rocsparse_index_base_b
; %bb.0:
	s_load_dwordx2 s[0:1], s[4:5], 0x30
	s_load_dwordx4 s[12:15], s[4:5], 0x50
	s_load_dwordx2 s[16:17], s[4:5], 0x70
	s_add_u32 s2, s4, 48
	s_addc_u32 s3, s5, 0
	s_add_u32 s7, s4, 0x58
	s_addc_u32 s8, s5, 0
	s_waitcnt lgkmcnt(0)
	s_bitcmp1_b32 s17, 0
	s_cselect_b32 s1, s3, s1
	s_cselect_b32 s0, s2, s0
	v_mov_b32_e32 v1, s0
	v_mov_b32_e32 v2, s1
	flat_load_dwordx2 v[1:2], v[1:2]
	s_cselect_b32 s0, s8, s15
	s_cselect_b32 s1, s7, s14
	v_mov_b32_e32 v3, s1
	v_mov_b32_e32 v4, s0
	flat_load_dwordx2 v[3:4], v[3:4]
	s_mov_b64 s[0:1], -1
	s_waitcnt vmcnt(0) lgkmcnt(0)
	v_or_b32_e32 v5, v1, v2
	v_and_b32_e32 v5, 0x7fffffff, v5
	v_cmp_eq_u32_e32 vcc, 0, v5
	s_and_saveexec_b64 s[2:3], vcc
; %bb.1:
	v_cmp_neq_f32_e32 vcc, 1.0, v3
	v_cmp_neq_f32_e64 s[0:1], 0, v4
	s_or_b64 s[0:1], vcc, s[0:1]
	s_orn2_b64 s[0:1], s[0:1], exec
; %bb.2:
	s_or_b64 exec, exec, s[2:3]
	s_and_saveexec_b64 s[2:3], s[0:1]
	s_cbranch_execz .LBB50_37
; %bb.3:
	s_load_dwordx4 s[8:11], s[4:5], 0x20
	v_lshrrev_b32_e32 v16, 3, v0
	v_lshl_or_b32 v5, s6, 6, v16
	v_mov_b32_e32 v6, 0
	s_waitcnt lgkmcnt(0)
	v_cmp_gt_i64_e32 vcc, s[10:11], v[5:6]
	s_and_b64 exec, exec, vcc
	s_cbranch_execz .LBB50_37
; %bb.4:
	s_load_dwordx2 s[10:11], s[4:5], 0x10
	s_load_dwordx2 s[6:7], s[4:5], 0x68
	s_mov_b32 s0, 0
                                        ; implicit-def: $vgpr11_vgpr12
	s_waitcnt lgkmcnt(0)
	s_mov_b32 s1, s11
	s_cmp_lg_u64 s[0:1], 0
	s_cselect_b64 s[0:1], -1, 0
	s_and_saveexec_b64 s[2:3], s[0:1]
	s_xor_b64 s[14:15], exec, s[2:3]
	s_cbranch_execz .LBB50_6
; %bb.5:
	s_ashr_i32 s0, s11, 31
	s_add_u32 s2, s10, s0
	s_mov_b32 s1, s0
	s_addc_u32 s3, s11, s0
	s_xor_b64 s[18:19], s[2:3], s[0:1]
	v_cvt_f32_u32_e32 v7, s18
	v_cvt_f32_u32_e32 v8, s19
	s_sub_u32 s2, 0, s18
	s_subb_u32 s3, 0, s19
	v_add_co_u32_e32 v11, vcc, 0, v5
	v_madmk_f32 v7, v8, 0x4f800000, v7
	v_rcp_f32_e32 v7, v7
	v_mul_f32_e32 v7, 0x5f7ffffc, v7
	v_mul_f32_e32 v8, 0x2f800000, v7
	v_trunc_f32_e32 v8, v8
	v_madmk_f32 v7, v8, 0xcf800000, v7
	v_cvt_u32_f32_e32 v8, v8
	v_cvt_u32_f32_e32 v7, v7
	v_readfirstlane_b32 s11, v8
	v_readfirstlane_b32 s0, v7
	s_mul_i32 s1, s2, s11
	s_mul_hi_u32 s20, s2, s0
	s_mul_i32 s17, s3, s0
	s_add_i32 s1, s20, s1
	s_add_i32 s1, s1, s17
	s_mul_i32 s21, s2, s0
	s_mul_i32 s20, s0, s1
	s_mul_hi_u32 s22, s0, s21
	s_mul_hi_u32 s17, s0, s1
	s_add_u32 s20, s22, s20
	s_addc_u32 s17, 0, s17
	s_mul_hi_u32 s23, s11, s21
	s_mul_i32 s21, s11, s21
	s_add_u32 s20, s20, s21
	s_mul_hi_u32 s22, s11, s1
	s_addc_u32 s17, s17, s23
	s_addc_u32 s20, s22, 0
	s_mul_i32 s1, s11, s1
	s_add_u32 s1, s17, s1
	s_addc_u32 s17, 0, s20
	s_add_u32 s20, s0, s1
	s_cselect_b64 s[0:1], -1, 0
	s_cmp_lg_u64 s[0:1], 0
	s_addc_u32 s11, s11, s17
	s_mul_i32 s0, s2, s11
	s_mul_hi_u32 s1, s2, s20
	s_add_i32 s0, s1, s0
	s_mul_i32 s3, s3, s20
	s_add_i32 s0, s0, s3
	s_mul_i32 s2, s2, s20
	s_mul_hi_u32 s3, s11, s2
	s_mul_i32 s17, s11, s2
	s_mul_i32 s22, s20, s0
	s_mul_hi_u32 s2, s20, s2
	s_mul_hi_u32 s21, s20, s0
	s_add_u32 s2, s2, s22
	s_addc_u32 s21, 0, s21
	s_add_u32 s2, s2, s17
	s_mul_hi_u32 s1, s11, s0
	s_addc_u32 s2, s21, s3
	s_addc_u32 s1, s1, 0
	s_mul_i32 s0, s11, s0
	s_add_u32 s0, s2, s0
	s_addc_u32 s2, 0, s1
	s_add_u32 s3, s20, s0
	s_cselect_b64 s[0:1], -1, 0
	s_cmp_lg_u64 s[0:1], 0
	s_addc_u32 s2, s11, s2
	v_mad_u64_u32 v[7:8], s[0:1], v11, s2, 0
	v_mul_hi_u32 v9, v11, s3
	v_addc_co_u32_e64 v12, s[0:1], 0, 0, vcc
	v_add_co_u32_e32 v13, vcc, v9, v7
	v_addc_co_u32_e32 v14, vcc, 0, v8, vcc
	v_mad_u64_u32 v[7:8], s[0:1], v12, s3, 0
	v_mad_u64_u32 v[9:10], s[0:1], v12, s2, 0
	v_add_co_u32_e32 v7, vcc, v13, v7
	v_addc_co_u32_e32 v7, vcc, v14, v8, vcc
	v_addc_co_u32_e32 v8, vcc, 0, v10, vcc
	v_add_co_u32_e32 v7, vcc, v7, v9
	v_addc_co_u32_e32 v8, vcc, 0, v8, vcc
	v_mul_lo_u32 v9, s19, v7
	v_mul_lo_u32 v10, s18, v8
	v_mad_u64_u32 v[7:8], s[0:1], s18, v7, 0
	v_add3_u32 v8, v8, v10, v9
	v_sub_u32_e32 v9, v12, v8
	v_mov_b32_e32 v10, s19
	v_sub_co_u32_e32 v7, vcc, v11, v7
	v_subb_co_u32_e64 v9, s[0:1], v9, v10, vcc
	v_subrev_co_u32_e64 v11, s[0:1], s18, v7
	v_subbrev_co_u32_e64 v13, s[2:3], 0, v9, s[0:1]
	v_cmp_le_u32_e64 s[2:3], s19, v13
	v_cndmask_b32_e64 v14, 0, -1, s[2:3]
	v_cmp_le_u32_e64 s[2:3], s18, v11
	v_subb_co_u32_e64 v9, s[0:1], v9, v10, s[0:1]
	v_cndmask_b32_e64 v15, 0, -1, s[2:3]
	v_cmp_eq_u32_e64 s[2:3], s19, v13
	v_subrev_co_u32_e64 v10, s[0:1], s18, v11
	v_subb_co_u32_e32 v8, vcc, v12, v8, vcc
	v_cndmask_b32_e64 v14, v14, v15, s[2:3]
	v_subbrev_co_u32_e64 v9, s[0:1], 0, v9, s[0:1]
	v_cmp_le_u32_e32 vcc, s19, v8
	v_cmp_ne_u32_e64 s[0:1], 0, v14
	v_cndmask_b32_e64 v12, 0, -1, vcc
	v_cmp_le_u32_e32 vcc, s18, v7
	v_cndmask_b32_e64 v9, v13, v9, s[0:1]
	v_cndmask_b32_e64 v13, 0, -1, vcc
	v_cmp_eq_u32_e32 vcc, s19, v8
	v_cndmask_b32_e32 v12, v12, v13, vcc
	v_cmp_ne_u32_e32 vcc, 0, v12
	v_cndmask_b32_e32 v8, v8, v9, vcc
	v_cndmask_b32_e64 v9, v11, v10, s[0:1]
	v_cndmask_b32_e32 v7, v7, v9, vcc
	v_subrev_co_u32_e32 v11, vcc, 0, v7
	v_subbrev_co_u32_e32 v12, vcc, 0, v8, vcc
.LBB50_6:
	s_andn2_saveexec_b64 s[0:1], s[14:15]
	s_cbranch_execz .LBB50_8
; %bb.7:
	v_cvt_f32_u32_e32 v7, s10
	s_sub_i32 s2, 0, s10
	v_mov_b32_e32 v12, 0
	v_rcp_iflag_f32_e32 v7, v7
	v_mul_f32_e32 v7, 0x4f7ffffe, v7
	v_cvt_u32_f32_e32 v7, v7
	v_mul_lo_u32 v8, s2, v7
	v_mul_hi_u32 v8, v7, v8
	v_add_u32_e32 v7, v7, v8
	v_mul_hi_u32 v7, v5, v7
	v_mul_lo_u32 v7, v7, s10
	v_sub_u32_e32 v7, v5, v7
	v_subrev_u32_e32 v8, s10, v7
	v_cmp_le_u32_e32 vcc, s10, v7
	v_cndmask_b32_e32 v7, v7, v8, vcc
	v_subrev_u32_e32 v8, s10, v7
	v_cmp_le_u32_e32 vcc, s10, v7
	v_cndmask_b32_e32 v11, v7, v8, vcc
.LBB50_8:
	s_or_b64 exec, exec, s[0:1]
	v_lshlrev_b64 v[5:6], 3, v[5:6]
	v_mov_b32_e32 v8, s7
	v_add_co_u32_e32 v7, vcc, s6, v5
	v_addc_co_u32_e32 v8, vcc, v8, v6, vcc
	global_load_dwordx2 v[7:8], v[7:8], off
	s_mov_b64 s[18:19], -1
	s_waitcnt vmcnt(0)
	v_subrev_co_u32_e32 v7, vcc, s16, v7
	v_subbrev_co_u32_e32 v8, vcc, 0, v8, vcc
	v_cmp_lt_i64_e32 vcc, -1, v[7:8]
	s_and_b64 exec, exec, vcc
	s_cbranch_execz .LBB50_37
; %bb.9:
	s_load_dwordx4 s[0:3], s[4:5], 0x0
	s_load_dwordx2 s[6:7], s[4:5], 0x40
                                        ; implicit-def: $vgpr9_vgpr10
	s_waitcnt lgkmcnt(0)
	s_cmp_eq_u32 s2, 1
	s_cselect_b64 s[10:11], -1, 0
	s_cmpk_eq_i32 s0, 0x6f
	s_cselect_b64 s[14:15], -1, 0
	s_cmpk_lg_i32 s0, 0x6f
	s_cselect_b64 s[16:17], -1, 0
	s_cmp_lg_u32 s2, 1
	s_cbranch_scc0 .LBB50_13
; %bb.10:
	v_mov_b32_e32 v9, v11
	s_andn2_b64 vcc, exec, s[14:15]
	v_mov_b32_e32 v10, v12
	s_cbranch_vccnz .LBB50_12
; %bb.11:
	v_mul_lo_u32 v13, v12, s6
	v_mul_lo_u32 v14, v11, s7
	v_mad_u64_u32 v[9:10], s[18:19], v11, s6, 0
	v_add3_u32 v10, v10, v14, v13
.LBB50_12:
	s_mov_b64 s[18:19], 0
.LBB50_13:
	s_andn2_b64 vcc, exec, s[18:19]
	s_cbranch_vccnz .LBB50_17
; %bb.14:
	s_andn2_b64 vcc, exec, s[16:17]
	s_cbranch_vccnz .LBB50_16
; %bb.15:
	v_mul_lo_u32 v9, v12, s6
	v_mul_lo_u32 v10, v11, s7
	v_mad_u64_u32 v[11:12], s[16:17], v11, s6, 0
	v_add3_u32 v12, v12, v10, v9
.LBB50_16:
	v_mov_b32_e32 v9, v11
	v_mov_b32_e32 v10, v12
.LBB50_17:
	s_cmp_eq_u32 s3, 1
	s_cselect_b64 s[16:17], -1, 0
	s_cmpk_eq_i32 s1, 0x6f
	s_cselect_b64 s[18:19], -1, 0
	s_cmpk_lg_i32 s1, 0x6f
	s_cselect_b64 s[0:1], -1, 0
	s_cmp_lg_u32 s3, 1
	s_cbranch_scc0 .LBB50_21
; %bb.18:
	v_mov_b32_e32 v13, v8
	s_andn2_b64 vcc, exec, s[0:1]
	v_mov_b32_e32 v12, v7
	s_cbranch_vccnz .LBB50_20
; %bb.19:
	v_mul_lo_u32 v11, v8, s12
	v_mul_lo_u32 v14, v7, s13
	v_mad_u64_u32 v[12:13], s[0:1], v7, s12, 0
	v_add3_u32 v13, v13, v14, v11
.LBB50_20:
	s_cbranch_execz .LBB50_22
	s_branch .LBB50_25
.LBB50_21:
                                        ; implicit-def: $vgpr12_vgpr13
.LBB50_22:
	s_andn2_b64 vcc, exec, s[18:19]
	s_cbranch_vccnz .LBB50_24
; %bb.23:
	v_mul_lo_u32 v11, v8, s12
	v_mul_lo_u32 v12, v7, s13
	v_mad_u64_u32 v[7:8], s[0:1], v7, s12, 0
	v_add3_u32 v8, v8, v12, v11
.LBB50_24:
	v_mov_b32_e32 v13, v8
	v_mov_b32_e32 v12, v7
.LBB50_25:
	s_load_dwordx2 s[0:1], s[4:5], 0x60
	v_and_b32_e32 v7, 7, v0
	v_mov_b32_e32 v8, 0
	v_cmp_gt_i64_e32 vcc, s[8:9], v[7:8]
	v_mov_b32_e32 v11, v8
	s_and_saveexec_b64 s[2:3], vcc
	s_cbranch_execz .LBB50_29
; %bb.26:
	s_xor_b64 s[10:11], s[14:15], s[10:11]
	s_and_b64 s[10:11], s[10:11], exec
	s_cselect_b32 s7, 0, s7
	s_cselect_b32 s6, 1, s6
	s_xor_b64 s[10:11], s[18:19], s[16:17]
	s_and_b64 s[10:11], s[10:11], exec
	s_cselect_b32 s10, s12, 1
	v_mad_u64_u32 v[14:15], s[14:15], s10, v7, 0
	s_cselect_b32 s11, s13, 0
	v_lshlrev_b64 v[11:12], 3, v[12:13]
	v_mov_b32_e32 v0, v15
	v_mad_u64_u32 v[17:18], s[12:13], s11, v7, v[0:1]
	s_load_dwordx2 s[12:13], s[4:5], 0x38
	s_load_dwordx2 s[14:15], s[4:5], 0x48
	v_lshlrev_b64 v[9:10], 3, v[9:10]
	v_mov_b32_e32 v15, v17
	v_lshlrev_b64 v[14:15], 3, v[14:15]
	v_add_co_u32_e32 v0, vcc, v14, v11
	v_addc_co_u32_e32 v11, vcc, v15, v12, vcc
	v_mad_u64_u32 v[14:15], s[4:5], s6, v7, 0
	s_waitcnt lgkmcnt(0)
	v_mov_b32_e32 v12, s15
	v_add_co_u32_e32 v13, vcc, s14, v0
	v_mov_b32_e32 v0, v15
	v_addc_co_u32_e32 v17, vcc, v12, v11, vcc
	v_mad_u64_u32 v[11:12], s[4:5], s7, v7, v[0:1]
	v_add_co_u32_e32 v12, vcc, 4, v13
	v_mov_b32_e32 v15, v11
	v_lshlrev_b64 v[14:15], 3, v[14:15]
	v_addc_co_u32_e32 v13, vcc, 0, v17, vcc
	v_add_co_u32_e32 v0, vcc, v14, v9
	v_addc_co_u32_e32 v10, vcc, v15, v10, vcc
	v_mov_b32_e32 v11, s13
	v_add_co_u32_e32 v9, vcc, s12, v0
	s_lshl_b64 s[4:5], s[10:11], 6
	v_addc_co_u32_e32 v10, vcc, v11, v10, vcc
	s_lshl_b64 s[6:7], s[6:7], 6
	v_mov_b32_e32 v11, 0
	v_mov_b32_e32 v15, v8
	s_mov_b64 s[10:11], 0
	v_mov_b32_e32 v0, s5
	v_mov_b32_e32 v17, s7
	;; [unrolled: 1-line block ×4, first 2 shown]
.LBB50_27:                              ; =>This Inner Loop Header: Depth=1
	global_load_dwordx2 v[18:19], v[9:10], off
	global_load_dwordx2 v[20:21], v[12:13], off offset:-4
	v_add_co_u32_e32 v14, vcc, 8, v14
	v_addc_co_u32_e32 v15, vcc, 0, v15, vcc
	v_add_co_u32_e32 v12, vcc, s4, v12
	v_addc_co_u32_e32 v13, vcc, v13, v0, vcc
	;; [unrolled: 2-line block ×3, first 2 shown]
	v_cmp_le_i64_e32 vcc, s[8:9], v[14:15]
	s_or_b64 s[10:11], vcc, s[10:11]
	s_waitcnt vmcnt(0)
	v_mul_f32_e64 v22, v21, -v19
	v_mul_f32_e32 v21, v21, v18
	v_fmac_f32_e32 v22, v18, v20
	v_fmac_f32_e32 v21, v19, v20
	v_add_f32_e32 v11, v11, v22
	v_add_f32_e32 v8, v8, v21
	s_andn2_b64 exec, exec, s[10:11]
	s_cbranch_execnz .LBB50_27
; %bb.28:
	s_or_b64 exec, exec, s[10:11]
.LBB50_29:
	s_or_b64 exec, exec, s[2:3]
	v_lshlrev_b32_e32 v0, 6, v16
	v_lshl_or_b32 v9, v7, 3, v0
	v_mov_b32_e32 v12, v8
	v_cmp_gt_u32_e32 vcc, 4, v7
	ds_write_b64 v9, v[11:12]
	s_waitcnt lgkmcnt(0)
	s_barrier
	s_and_saveexec_b64 s[2:3], vcc
	s_cbranch_execz .LBB50_31
; %bb.30:
	ds_read2_b64 v[10:13], v9 offset1:4
	s_waitcnt lgkmcnt(0)
	v_add_f32_e32 v10, v12, v10
	v_add_f32_e32 v11, v13, v11
	ds_write_b64 v9, v[10:11]
.LBB50_31:
	s_or_b64 exec, exec, s[2:3]
	v_cmp_gt_u32_e32 vcc, 2, v7
	s_waitcnt lgkmcnt(0)
	s_barrier
	s_and_saveexec_b64 s[2:3], vcc
	s_cbranch_execz .LBB50_33
; %bb.32:
	ds_read2_b64 v[10:13], v9 offset1:2
	s_waitcnt lgkmcnt(0)
	v_add_f32_e32 v10, v12, v10
	v_add_f32_e32 v11, v13, v11
	ds_write_b64 v9, v[10:11]
.LBB50_33:
	s_or_b64 exec, exec, s[2:3]
	v_cmp_eq_u32_e32 vcc, 0, v7
	s_waitcnt lgkmcnt(0)
	s_barrier
	s_and_saveexec_b64 s[2:3], vcc
	s_cbranch_execz .LBB50_35
; %bb.34:
	ds_read2_b64 v[10:13], v9 offset1:1
	s_waitcnt lgkmcnt(0)
	v_add_f32_e32 v7, v12, v10
	v_add_f32_e32 v8, v13, v11
	ds_write_b64 v9, v[7:8]
.LBB50_35:
	s_or_b64 exec, exec, s[2:3]
	s_waitcnt lgkmcnt(0)
	s_barrier
	s_and_b64 exec, exec, vcc
	s_cbranch_execz .LBB50_37
; %bb.36:
	v_mov_b32_e32 v7, s1
	v_add_co_u32_e32 v5, vcc, s0, v5
	v_addc_co_u32_e32 v6, vcc, v7, v6, vcc
	global_load_dwordx2 v[7:8], v[5:6], off
	ds_read_b64 v[9:10], v0
	s_waitcnt lgkmcnt(0)
	v_mul_f32_e64 v0, v10, -v2
	v_mul_f32_e32 v10, v10, v1
	v_fmac_f32_e32 v0, v1, v9
	v_fmac_f32_e32 v10, v2, v9
	s_waitcnt vmcnt(0)
	v_mul_f32_e64 v1, v4, -v8
	v_mul_f32_e32 v2, v4, v7
	v_fmac_f32_e32 v1, v7, v3
	v_fmac_f32_e32 v2, v8, v3
	v_add_f32_e32 v0, v0, v1
	v_add_f32_e32 v1, v10, v2
	global_store_dwordx2 v[5:6], v[0:1], off
.LBB50_37:
	s_endpgm
	.section	.rodata,"a",@progbits
	.p2align	6, 0x0
	.amdhsa_kernel _ZN9rocsparseL16sddmm_ell_kernelILi512ELi8E21rocsparse_complex_numIfEllS2_S2_S2_EEv20rocsparse_operation_S3_16rocsparse_order_S4_T3_S5_S5_T2_NS_24const_host_device_scalarIT1_EEPKT4_lPKT5_lS9_PT6_PKS5_21rocsparse_index_base_b
		.amdhsa_group_segment_fixed_size 4096
		.amdhsa_private_segment_fixed_size 0
		.amdhsa_kernarg_size 120
		.amdhsa_user_sgpr_count 6
		.amdhsa_user_sgpr_private_segment_buffer 1
		.amdhsa_user_sgpr_dispatch_ptr 0
		.amdhsa_user_sgpr_queue_ptr 0
		.amdhsa_user_sgpr_kernarg_segment_ptr 1
		.amdhsa_user_sgpr_dispatch_id 0
		.amdhsa_user_sgpr_flat_scratch_init 0
		.amdhsa_user_sgpr_private_segment_size 0
		.amdhsa_uses_dynamic_stack 0
		.amdhsa_system_sgpr_private_segment_wavefront_offset 0
		.amdhsa_system_sgpr_workgroup_id_x 1
		.amdhsa_system_sgpr_workgroup_id_y 0
		.amdhsa_system_sgpr_workgroup_id_z 0
		.amdhsa_system_sgpr_workgroup_info 0
		.amdhsa_system_vgpr_workitem_id 0
		.amdhsa_next_free_vgpr 23
		.amdhsa_next_free_sgpr 24
		.amdhsa_reserve_vcc 1
		.amdhsa_reserve_flat_scratch 0
		.amdhsa_float_round_mode_32 0
		.amdhsa_float_round_mode_16_64 0
		.amdhsa_float_denorm_mode_32 3
		.amdhsa_float_denorm_mode_16_64 3
		.amdhsa_dx10_clamp 1
		.amdhsa_ieee_mode 1
		.amdhsa_fp16_overflow 0
		.amdhsa_exception_fp_ieee_invalid_op 0
		.amdhsa_exception_fp_denorm_src 0
		.amdhsa_exception_fp_ieee_div_zero 0
		.amdhsa_exception_fp_ieee_overflow 0
		.amdhsa_exception_fp_ieee_underflow 0
		.amdhsa_exception_fp_ieee_inexact 0
		.amdhsa_exception_int_div_zero 0
	.end_amdhsa_kernel
	.section	.text._ZN9rocsparseL16sddmm_ell_kernelILi512ELi8E21rocsparse_complex_numIfEllS2_S2_S2_EEv20rocsparse_operation_S3_16rocsparse_order_S4_T3_S5_S5_T2_NS_24const_host_device_scalarIT1_EEPKT4_lPKT5_lS9_PT6_PKS5_21rocsparse_index_base_b,"axG",@progbits,_ZN9rocsparseL16sddmm_ell_kernelILi512ELi8E21rocsparse_complex_numIfEllS2_S2_S2_EEv20rocsparse_operation_S3_16rocsparse_order_S4_T3_S5_S5_T2_NS_24const_host_device_scalarIT1_EEPKT4_lPKT5_lS9_PT6_PKS5_21rocsparse_index_base_b,comdat
.Lfunc_end50:
	.size	_ZN9rocsparseL16sddmm_ell_kernelILi512ELi8E21rocsparse_complex_numIfEllS2_S2_S2_EEv20rocsparse_operation_S3_16rocsparse_order_S4_T3_S5_S5_T2_NS_24const_host_device_scalarIT1_EEPKT4_lPKT5_lS9_PT6_PKS5_21rocsparse_index_base_b, .Lfunc_end50-_ZN9rocsparseL16sddmm_ell_kernelILi512ELi8E21rocsparse_complex_numIfEllS2_S2_S2_EEv20rocsparse_operation_S3_16rocsparse_order_S4_T3_S5_S5_T2_NS_24const_host_device_scalarIT1_EEPKT4_lPKT5_lS9_PT6_PKS5_21rocsparse_index_base_b
                                        ; -- End function
	.set _ZN9rocsparseL16sddmm_ell_kernelILi512ELi8E21rocsparse_complex_numIfEllS2_S2_S2_EEv20rocsparse_operation_S3_16rocsparse_order_S4_T3_S5_S5_T2_NS_24const_host_device_scalarIT1_EEPKT4_lPKT5_lS9_PT6_PKS5_21rocsparse_index_base_b.num_vgpr, 23
	.set _ZN9rocsparseL16sddmm_ell_kernelILi512ELi8E21rocsparse_complex_numIfEllS2_S2_S2_EEv20rocsparse_operation_S3_16rocsparse_order_S4_T3_S5_S5_T2_NS_24const_host_device_scalarIT1_EEPKT4_lPKT5_lS9_PT6_PKS5_21rocsparse_index_base_b.num_agpr, 0
	.set _ZN9rocsparseL16sddmm_ell_kernelILi512ELi8E21rocsparse_complex_numIfEllS2_S2_S2_EEv20rocsparse_operation_S3_16rocsparse_order_S4_T3_S5_S5_T2_NS_24const_host_device_scalarIT1_EEPKT4_lPKT5_lS9_PT6_PKS5_21rocsparse_index_base_b.numbered_sgpr, 24
	.set _ZN9rocsparseL16sddmm_ell_kernelILi512ELi8E21rocsparse_complex_numIfEllS2_S2_S2_EEv20rocsparse_operation_S3_16rocsparse_order_S4_T3_S5_S5_T2_NS_24const_host_device_scalarIT1_EEPKT4_lPKT5_lS9_PT6_PKS5_21rocsparse_index_base_b.num_named_barrier, 0
	.set _ZN9rocsparseL16sddmm_ell_kernelILi512ELi8E21rocsparse_complex_numIfEllS2_S2_S2_EEv20rocsparse_operation_S3_16rocsparse_order_S4_T3_S5_S5_T2_NS_24const_host_device_scalarIT1_EEPKT4_lPKT5_lS9_PT6_PKS5_21rocsparse_index_base_b.private_seg_size, 0
	.set _ZN9rocsparseL16sddmm_ell_kernelILi512ELi8E21rocsparse_complex_numIfEllS2_S2_S2_EEv20rocsparse_operation_S3_16rocsparse_order_S4_T3_S5_S5_T2_NS_24const_host_device_scalarIT1_EEPKT4_lPKT5_lS9_PT6_PKS5_21rocsparse_index_base_b.uses_vcc, 1
	.set _ZN9rocsparseL16sddmm_ell_kernelILi512ELi8E21rocsparse_complex_numIfEllS2_S2_S2_EEv20rocsparse_operation_S3_16rocsparse_order_S4_T3_S5_S5_T2_NS_24const_host_device_scalarIT1_EEPKT4_lPKT5_lS9_PT6_PKS5_21rocsparse_index_base_b.uses_flat_scratch, 0
	.set _ZN9rocsparseL16sddmm_ell_kernelILi512ELi8E21rocsparse_complex_numIfEllS2_S2_S2_EEv20rocsparse_operation_S3_16rocsparse_order_S4_T3_S5_S5_T2_NS_24const_host_device_scalarIT1_EEPKT4_lPKT5_lS9_PT6_PKS5_21rocsparse_index_base_b.has_dyn_sized_stack, 0
	.set _ZN9rocsparseL16sddmm_ell_kernelILi512ELi8E21rocsparse_complex_numIfEllS2_S2_S2_EEv20rocsparse_operation_S3_16rocsparse_order_S4_T3_S5_S5_T2_NS_24const_host_device_scalarIT1_EEPKT4_lPKT5_lS9_PT6_PKS5_21rocsparse_index_base_b.has_recursion, 0
	.set _ZN9rocsparseL16sddmm_ell_kernelILi512ELi8E21rocsparse_complex_numIfEllS2_S2_S2_EEv20rocsparse_operation_S3_16rocsparse_order_S4_T3_S5_S5_T2_NS_24const_host_device_scalarIT1_EEPKT4_lPKT5_lS9_PT6_PKS5_21rocsparse_index_base_b.has_indirect_call, 0
	.section	.AMDGPU.csdata,"",@progbits
; Kernel info:
; codeLenInByte = 1924
; TotalNumSgprs: 28
; NumVgprs: 23
; ScratchSize: 0
; MemoryBound: 0
; FloatMode: 240
; IeeeMode: 1
; LDSByteSize: 4096 bytes/workgroup (compile time only)
; SGPRBlocks: 3
; VGPRBlocks: 5
; NumSGPRsForWavesPerEU: 28
; NumVGPRsForWavesPerEU: 23
; Occupancy: 10
; WaveLimiterHint : 0
; COMPUTE_PGM_RSRC2:SCRATCH_EN: 0
; COMPUTE_PGM_RSRC2:USER_SGPR: 6
; COMPUTE_PGM_RSRC2:TRAP_HANDLER: 0
; COMPUTE_PGM_RSRC2:TGID_X_EN: 1
; COMPUTE_PGM_RSRC2:TGID_Y_EN: 0
; COMPUTE_PGM_RSRC2:TGID_Z_EN: 0
; COMPUTE_PGM_RSRC2:TIDIG_COMP_CNT: 0
	.section	.text._ZN9rocsparseL16sddmm_ell_kernelILi512ELi4E21rocsparse_complex_numIfEllS2_S2_S2_EEv20rocsparse_operation_S3_16rocsparse_order_S4_T3_S5_S5_T2_NS_24const_host_device_scalarIT1_EEPKT4_lPKT5_lS9_PT6_PKS5_21rocsparse_index_base_b,"axG",@progbits,_ZN9rocsparseL16sddmm_ell_kernelILi512ELi4E21rocsparse_complex_numIfEllS2_S2_S2_EEv20rocsparse_operation_S3_16rocsparse_order_S4_T3_S5_S5_T2_NS_24const_host_device_scalarIT1_EEPKT4_lPKT5_lS9_PT6_PKS5_21rocsparse_index_base_b,comdat
	.globl	_ZN9rocsparseL16sddmm_ell_kernelILi512ELi4E21rocsparse_complex_numIfEllS2_S2_S2_EEv20rocsparse_operation_S3_16rocsparse_order_S4_T3_S5_S5_T2_NS_24const_host_device_scalarIT1_EEPKT4_lPKT5_lS9_PT6_PKS5_21rocsparse_index_base_b ; -- Begin function _ZN9rocsparseL16sddmm_ell_kernelILi512ELi4E21rocsparse_complex_numIfEllS2_S2_S2_EEv20rocsparse_operation_S3_16rocsparse_order_S4_T3_S5_S5_T2_NS_24const_host_device_scalarIT1_EEPKT4_lPKT5_lS9_PT6_PKS5_21rocsparse_index_base_b
	.p2align	8
	.type	_ZN9rocsparseL16sddmm_ell_kernelILi512ELi4E21rocsparse_complex_numIfEllS2_S2_S2_EEv20rocsparse_operation_S3_16rocsparse_order_S4_T3_S5_S5_T2_NS_24const_host_device_scalarIT1_EEPKT4_lPKT5_lS9_PT6_PKS5_21rocsparse_index_base_b,@function
_ZN9rocsparseL16sddmm_ell_kernelILi512ELi4E21rocsparse_complex_numIfEllS2_S2_S2_EEv20rocsparse_operation_S3_16rocsparse_order_S4_T3_S5_S5_T2_NS_24const_host_device_scalarIT1_EEPKT4_lPKT5_lS9_PT6_PKS5_21rocsparse_index_base_b: ; @_ZN9rocsparseL16sddmm_ell_kernelILi512ELi4E21rocsparse_complex_numIfEllS2_S2_S2_EEv20rocsparse_operation_S3_16rocsparse_order_S4_T3_S5_S5_T2_NS_24const_host_device_scalarIT1_EEPKT4_lPKT5_lS9_PT6_PKS5_21rocsparse_index_base_b
; %bb.0:
	s_load_dwordx2 s[0:1], s[4:5], 0x30
	s_load_dwordx4 s[12:15], s[4:5], 0x50
	s_load_dwordx2 s[16:17], s[4:5], 0x70
	s_add_u32 s2, s4, 48
	s_addc_u32 s3, s5, 0
	s_add_u32 s7, s4, 0x58
	s_addc_u32 s8, s5, 0
	s_waitcnt lgkmcnt(0)
	s_bitcmp1_b32 s17, 0
	s_cselect_b32 s1, s3, s1
	s_cselect_b32 s0, s2, s0
	v_mov_b32_e32 v1, s0
	v_mov_b32_e32 v2, s1
	flat_load_dwordx2 v[1:2], v[1:2]
	s_cselect_b32 s0, s8, s15
	s_cselect_b32 s1, s7, s14
	v_mov_b32_e32 v3, s1
	v_mov_b32_e32 v4, s0
	flat_load_dwordx2 v[3:4], v[3:4]
	s_mov_b64 s[0:1], -1
	s_waitcnt vmcnt(0) lgkmcnt(0)
	v_or_b32_e32 v5, v1, v2
	v_and_b32_e32 v5, 0x7fffffff, v5
	v_cmp_eq_u32_e32 vcc, 0, v5
	s_and_saveexec_b64 s[2:3], vcc
; %bb.1:
	v_cmp_neq_f32_e32 vcc, 1.0, v3
	v_cmp_neq_f32_e64 s[0:1], 0, v4
	s_or_b64 s[0:1], vcc, s[0:1]
	s_orn2_b64 s[0:1], s[0:1], exec
; %bb.2:
	s_or_b64 exec, exec, s[2:3]
	s_and_saveexec_b64 s[2:3], s[0:1]
	s_cbranch_execz .LBB51_35
; %bb.3:
	s_load_dwordx4 s[8:11], s[4:5], 0x20
	v_lshrrev_b32_e32 v16, 2, v0
	v_lshl_or_b32 v5, s6, 7, v16
	v_mov_b32_e32 v6, 0
	s_waitcnt lgkmcnt(0)
	v_cmp_gt_i64_e32 vcc, s[10:11], v[5:6]
	s_and_b64 exec, exec, vcc
	s_cbranch_execz .LBB51_35
; %bb.4:
	s_load_dwordx2 s[10:11], s[4:5], 0x10
	s_load_dwordx2 s[6:7], s[4:5], 0x68
	s_mov_b32 s0, 0
                                        ; implicit-def: $vgpr11_vgpr12
	s_waitcnt lgkmcnt(0)
	s_mov_b32 s1, s11
	s_cmp_lg_u64 s[0:1], 0
	s_cselect_b64 s[0:1], -1, 0
	s_and_saveexec_b64 s[2:3], s[0:1]
	s_xor_b64 s[14:15], exec, s[2:3]
	s_cbranch_execz .LBB51_6
; %bb.5:
	s_ashr_i32 s0, s11, 31
	s_add_u32 s2, s10, s0
	s_mov_b32 s1, s0
	s_addc_u32 s3, s11, s0
	s_xor_b64 s[18:19], s[2:3], s[0:1]
	v_cvt_f32_u32_e32 v7, s18
	v_cvt_f32_u32_e32 v8, s19
	s_sub_u32 s2, 0, s18
	s_subb_u32 s3, 0, s19
	v_add_co_u32_e32 v11, vcc, 0, v5
	v_madmk_f32 v7, v8, 0x4f800000, v7
	v_rcp_f32_e32 v7, v7
	v_mul_f32_e32 v7, 0x5f7ffffc, v7
	v_mul_f32_e32 v8, 0x2f800000, v7
	v_trunc_f32_e32 v8, v8
	v_madmk_f32 v7, v8, 0xcf800000, v7
	v_cvt_u32_f32_e32 v8, v8
	v_cvt_u32_f32_e32 v7, v7
	v_readfirstlane_b32 s11, v8
	v_readfirstlane_b32 s0, v7
	s_mul_i32 s1, s2, s11
	s_mul_hi_u32 s20, s2, s0
	s_mul_i32 s17, s3, s0
	s_add_i32 s1, s20, s1
	s_add_i32 s1, s1, s17
	s_mul_i32 s21, s2, s0
	s_mul_i32 s20, s0, s1
	s_mul_hi_u32 s22, s0, s21
	s_mul_hi_u32 s17, s0, s1
	s_add_u32 s20, s22, s20
	s_addc_u32 s17, 0, s17
	s_mul_hi_u32 s23, s11, s21
	s_mul_i32 s21, s11, s21
	s_add_u32 s20, s20, s21
	s_mul_hi_u32 s22, s11, s1
	s_addc_u32 s17, s17, s23
	s_addc_u32 s20, s22, 0
	s_mul_i32 s1, s11, s1
	s_add_u32 s1, s17, s1
	s_addc_u32 s17, 0, s20
	s_add_u32 s20, s0, s1
	s_cselect_b64 s[0:1], -1, 0
	s_cmp_lg_u64 s[0:1], 0
	s_addc_u32 s11, s11, s17
	s_mul_i32 s0, s2, s11
	s_mul_hi_u32 s1, s2, s20
	s_add_i32 s0, s1, s0
	s_mul_i32 s3, s3, s20
	s_add_i32 s0, s0, s3
	s_mul_i32 s2, s2, s20
	s_mul_hi_u32 s3, s11, s2
	s_mul_i32 s17, s11, s2
	s_mul_i32 s22, s20, s0
	s_mul_hi_u32 s2, s20, s2
	s_mul_hi_u32 s21, s20, s0
	s_add_u32 s2, s2, s22
	s_addc_u32 s21, 0, s21
	s_add_u32 s2, s2, s17
	s_mul_hi_u32 s1, s11, s0
	s_addc_u32 s2, s21, s3
	s_addc_u32 s1, s1, 0
	s_mul_i32 s0, s11, s0
	s_add_u32 s0, s2, s0
	s_addc_u32 s2, 0, s1
	s_add_u32 s3, s20, s0
	s_cselect_b64 s[0:1], -1, 0
	s_cmp_lg_u64 s[0:1], 0
	s_addc_u32 s2, s11, s2
	v_mad_u64_u32 v[7:8], s[0:1], v11, s2, 0
	v_mul_hi_u32 v9, v11, s3
	v_addc_co_u32_e64 v12, s[0:1], 0, 0, vcc
	v_add_co_u32_e32 v13, vcc, v9, v7
	v_addc_co_u32_e32 v14, vcc, 0, v8, vcc
	v_mad_u64_u32 v[7:8], s[0:1], v12, s3, 0
	v_mad_u64_u32 v[9:10], s[0:1], v12, s2, 0
	v_add_co_u32_e32 v7, vcc, v13, v7
	v_addc_co_u32_e32 v7, vcc, v14, v8, vcc
	v_addc_co_u32_e32 v8, vcc, 0, v10, vcc
	v_add_co_u32_e32 v7, vcc, v7, v9
	v_addc_co_u32_e32 v8, vcc, 0, v8, vcc
	v_mul_lo_u32 v9, s19, v7
	v_mul_lo_u32 v10, s18, v8
	v_mad_u64_u32 v[7:8], s[0:1], s18, v7, 0
	v_add3_u32 v8, v8, v10, v9
	v_sub_u32_e32 v9, v12, v8
	v_mov_b32_e32 v10, s19
	v_sub_co_u32_e32 v7, vcc, v11, v7
	v_subb_co_u32_e64 v9, s[0:1], v9, v10, vcc
	v_subrev_co_u32_e64 v11, s[0:1], s18, v7
	v_subbrev_co_u32_e64 v13, s[2:3], 0, v9, s[0:1]
	v_cmp_le_u32_e64 s[2:3], s19, v13
	v_cndmask_b32_e64 v14, 0, -1, s[2:3]
	v_cmp_le_u32_e64 s[2:3], s18, v11
	v_subb_co_u32_e64 v9, s[0:1], v9, v10, s[0:1]
	v_cndmask_b32_e64 v15, 0, -1, s[2:3]
	v_cmp_eq_u32_e64 s[2:3], s19, v13
	v_subrev_co_u32_e64 v10, s[0:1], s18, v11
	v_subb_co_u32_e32 v8, vcc, v12, v8, vcc
	v_cndmask_b32_e64 v14, v14, v15, s[2:3]
	v_subbrev_co_u32_e64 v9, s[0:1], 0, v9, s[0:1]
	v_cmp_le_u32_e32 vcc, s19, v8
	v_cmp_ne_u32_e64 s[0:1], 0, v14
	v_cndmask_b32_e64 v12, 0, -1, vcc
	v_cmp_le_u32_e32 vcc, s18, v7
	v_cndmask_b32_e64 v9, v13, v9, s[0:1]
	v_cndmask_b32_e64 v13, 0, -1, vcc
	v_cmp_eq_u32_e32 vcc, s19, v8
	v_cndmask_b32_e32 v12, v12, v13, vcc
	v_cmp_ne_u32_e32 vcc, 0, v12
	v_cndmask_b32_e32 v8, v8, v9, vcc
	v_cndmask_b32_e64 v9, v11, v10, s[0:1]
	v_cndmask_b32_e32 v7, v7, v9, vcc
	v_subrev_co_u32_e32 v11, vcc, 0, v7
	v_subbrev_co_u32_e32 v12, vcc, 0, v8, vcc
.LBB51_6:
	s_andn2_saveexec_b64 s[0:1], s[14:15]
	s_cbranch_execz .LBB51_8
; %bb.7:
	v_cvt_f32_u32_e32 v7, s10
	s_sub_i32 s2, 0, s10
	v_mov_b32_e32 v12, 0
	v_rcp_iflag_f32_e32 v7, v7
	v_mul_f32_e32 v7, 0x4f7ffffe, v7
	v_cvt_u32_f32_e32 v7, v7
	v_mul_lo_u32 v8, s2, v7
	v_mul_hi_u32 v8, v7, v8
	v_add_u32_e32 v7, v7, v8
	v_mul_hi_u32 v7, v5, v7
	v_mul_lo_u32 v7, v7, s10
	v_sub_u32_e32 v7, v5, v7
	v_subrev_u32_e32 v8, s10, v7
	v_cmp_le_u32_e32 vcc, s10, v7
	v_cndmask_b32_e32 v7, v7, v8, vcc
	v_subrev_u32_e32 v8, s10, v7
	v_cmp_le_u32_e32 vcc, s10, v7
	v_cndmask_b32_e32 v11, v7, v8, vcc
.LBB51_8:
	s_or_b64 exec, exec, s[0:1]
	v_lshlrev_b64 v[5:6], 3, v[5:6]
	v_mov_b32_e32 v8, s7
	v_add_co_u32_e32 v7, vcc, s6, v5
	v_addc_co_u32_e32 v8, vcc, v8, v6, vcc
	global_load_dwordx2 v[7:8], v[7:8], off
	s_mov_b64 s[18:19], -1
	s_waitcnt vmcnt(0)
	v_subrev_co_u32_e32 v7, vcc, s16, v7
	v_subbrev_co_u32_e32 v8, vcc, 0, v8, vcc
	v_cmp_lt_i64_e32 vcc, -1, v[7:8]
	s_and_b64 exec, exec, vcc
	s_cbranch_execz .LBB51_35
; %bb.9:
	s_load_dwordx4 s[0:3], s[4:5], 0x0
	s_load_dwordx2 s[6:7], s[4:5], 0x40
                                        ; implicit-def: $vgpr9_vgpr10
	s_waitcnt lgkmcnt(0)
	s_cmp_eq_u32 s2, 1
	s_cselect_b64 s[10:11], -1, 0
	s_cmpk_eq_i32 s0, 0x6f
	s_cselect_b64 s[14:15], -1, 0
	s_cmpk_lg_i32 s0, 0x6f
	s_cselect_b64 s[16:17], -1, 0
	s_cmp_lg_u32 s2, 1
	s_cbranch_scc0 .LBB51_13
; %bb.10:
	v_mov_b32_e32 v9, v11
	s_andn2_b64 vcc, exec, s[14:15]
	v_mov_b32_e32 v10, v12
	s_cbranch_vccnz .LBB51_12
; %bb.11:
	v_mul_lo_u32 v13, v12, s6
	v_mul_lo_u32 v14, v11, s7
	v_mad_u64_u32 v[9:10], s[18:19], v11, s6, 0
	v_add3_u32 v10, v10, v14, v13
.LBB51_12:
	s_mov_b64 s[18:19], 0
.LBB51_13:
	s_andn2_b64 vcc, exec, s[18:19]
	s_cbranch_vccnz .LBB51_17
; %bb.14:
	s_andn2_b64 vcc, exec, s[16:17]
	s_cbranch_vccnz .LBB51_16
; %bb.15:
	v_mul_lo_u32 v9, v12, s6
	v_mul_lo_u32 v10, v11, s7
	v_mad_u64_u32 v[11:12], s[16:17], v11, s6, 0
	v_add3_u32 v12, v12, v10, v9
.LBB51_16:
	v_mov_b32_e32 v9, v11
	v_mov_b32_e32 v10, v12
.LBB51_17:
	s_cmp_eq_u32 s3, 1
	s_cselect_b64 s[16:17], -1, 0
	s_cmpk_eq_i32 s1, 0x6f
	s_cselect_b64 s[18:19], -1, 0
	s_cmpk_lg_i32 s1, 0x6f
	s_cselect_b64 s[0:1], -1, 0
	s_cmp_lg_u32 s3, 1
	s_cbranch_scc0 .LBB51_21
; %bb.18:
	v_mov_b32_e32 v13, v8
	s_andn2_b64 vcc, exec, s[0:1]
	v_mov_b32_e32 v12, v7
	s_cbranch_vccnz .LBB51_20
; %bb.19:
	v_mul_lo_u32 v11, v8, s12
	v_mul_lo_u32 v14, v7, s13
	v_mad_u64_u32 v[12:13], s[0:1], v7, s12, 0
	v_add3_u32 v13, v13, v14, v11
.LBB51_20:
	s_cbranch_execz .LBB51_22
	s_branch .LBB51_25
.LBB51_21:
                                        ; implicit-def: $vgpr12_vgpr13
.LBB51_22:
	s_andn2_b64 vcc, exec, s[18:19]
	s_cbranch_vccnz .LBB51_24
; %bb.23:
	v_mul_lo_u32 v11, v8, s12
	v_mul_lo_u32 v12, v7, s13
	v_mad_u64_u32 v[7:8], s[0:1], v7, s12, 0
	v_add3_u32 v8, v8, v12, v11
.LBB51_24:
	v_mov_b32_e32 v13, v8
	v_mov_b32_e32 v12, v7
.LBB51_25:
	s_load_dwordx2 s[0:1], s[4:5], 0x60
	v_and_b32_e32 v7, 3, v0
	v_mov_b32_e32 v8, 0
	v_cmp_gt_i64_e32 vcc, s[8:9], v[7:8]
	v_mov_b32_e32 v11, v8
	s_and_saveexec_b64 s[2:3], vcc
	s_cbranch_execz .LBB51_29
; %bb.26:
	s_xor_b64 s[10:11], s[14:15], s[10:11]
	s_and_b64 s[10:11], s[10:11], exec
	s_cselect_b32 s7, 0, s7
	s_cselect_b32 s6, 1, s6
	s_xor_b64 s[10:11], s[18:19], s[16:17]
	s_and_b64 s[10:11], s[10:11], exec
	s_cselect_b32 s10, s12, 1
	v_mad_u64_u32 v[14:15], s[14:15], s10, v7, 0
	s_cselect_b32 s11, s13, 0
	v_lshlrev_b64 v[11:12], 3, v[12:13]
	v_mov_b32_e32 v0, v15
	v_mad_u64_u32 v[17:18], s[12:13], s11, v7, v[0:1]
	s_load_dwordx2 s[12:13], s[4:5], 0x38
	s_load_dwordx2 s[14:15], s[4:5], 0x48
	v_lshlrev_b64 v[9:10], 3, v[9:10]
	v_mov_b32_e32 v15, v17
	v_lshlrev_b64 v[14:15], 3, v[14:15]
	v_add_co_u32_e32 v0, vcc, v14, v11
	v_addc_co_u32_e32 v11, vcc, v15, v12, vcc
	v_mad_u64_u32 v[14:15], s[4:5], s6, v7, 0
	s_waitcnt lgkmcnt(0)
	v_mov_b32_e32 v12, s15
	v_add_co_u32_e32 v13, vcc, s14, v0
	v_mov_b32_e32 v0, v15
	v_addc_co_u32_e32 v17, vcc, v12, v11, vcc
	v_mad_u64_u32 v[11:12], s[4:5], s7, v7, v[0:1]
	v_add_co_u32_e32 v12, vcc, 4, v13
	v_mov_b32_e32 v15, v11
	v_lshlrev_b64 v[14:15], 3, v[14:15]
	v_addc_co_u32_e32 v13, vcc, 0, v17, vcc
	v_add_co_u32_e32 v0, vcc, v14, v9
	v_addc_co_u32_e32 v10, vcc, v15, v10, vcc
	v_mov_b32_e32 v11, s13
	v_add_co_u32_e32 v9, vcc, s12, v0
	s_lshl_b64 s[4:5], s[10:11], 5
	v_addc_co_u32_e32 v10, vcc, v11, v10, vcc
	s_lshl_b64 s[6:7], s[6:7], 5
	v_mov_b32_e32 v11, 0
	v_mov_b32_e32 v15, v8
	s_mov_b64 s[10:11], 0
	v_mov_b32_e32 v0, s5
	v_mov_b32_e32 v17, s7
	;; [unrolled: 1-line block ×4, first 2 shown]
.LBB51_27:                              ; =>This Inner Loop Header: Depth=1
	global_load_dwordx2 v[18:19], v[9:10], off
	global_load_dwordx2 v[20:21], v[12:13], off offset:-4
	v_add_co_u32_e32 v14, vcc, 4, v14
	v_addc_co_u32_e32 v15, vcc, 0, v15, vcc
	v_add_co_u32_e32 v12, vcc, s4, v12
	v_addc_co_u32_e32 v13, vcc, v13, v0, vcc
	;; [unrolled: 2-line block ×3, first 2 shown]
	v_cmp_le_i64_e32 vcc, s[8:9], v[14:15]
	s_or_b64 s[10:11], vcc, s[10:11]
	s_waitcnt vmcnt(0)
	v_mul_f32_e64 v22, v21, -v19
	v_mul_f32_e32 v21, v21, v18
	v_fmac_f32_e32 v22, v18, v20
	v_fmac_f32_e32 v21, v19, v20
	v_add_f32_e32 v11, v11, v22
	v_add_f32_e32 v8, v8, v21
	s_andn2_b64 exec, exec, s[10:11]
	s_cbranch_execnz .LBB51_27
; %bb.28:
	s_or_b64 exec, exec, s[10:11]
.LBB51_29:
	s_or_b64 exec, exec, s[2:3]
	v_lshlrev_b32_e32 v0, 5, v16
	v_lshl_or_b32 v9, v7, 3, v0
	v_mov_b32_e32 v12, v8
	v_cmp_gt_u32_e32 vcc, 2, v7
	ds_write_b64 v9, v[11:12]
	s_waitcnt lgkmcnt(0)
	s_barrier
	s_and_saveexec_b64 s[2:3], vcc
	s_cbranch_execz .LBB51_31
; %bb.30:
	ds_read2_b64 v[10:13], v9 offset1:2
	s_waitcnt lgkmcnt(0)
	v_add_f32_e32 v10, v12, v10
	v_add_f32_e32 v11, v13, v11
	ds_write_b64 v9, v[10:11]
.LBB51_31:
	s_or_b64 exec, exec, s[2:3]
	v_cmp_eq_u32_e32 vcc, 0, v7
	s_waitcnt lgkmcnt(0)
	s_barrier
	s_and_saveexec_b64 s[2:3], vcc
	s_cbranch_execz .LBB51_33
; %bb.32:
	ds_read2_b64 v[10:13], v9 offset1:1
	s_waitcnt lgkmcnt(0)
	v_add_f32_e32 v7, v12, v10
	v_add_f32_e32 v8, v13, v11
	ds_write_b64 v9, v[7:8]
.LBB51_33:
	s_or_b64 exec, exec, s[2:3]
	s_waitcnt lgkmcnt(0)
	s_barrier
	s_and_b64 exec, exec, vcc
	s_cbranch_execz .LBB51_35
; %bb.34:
	v_mov_b32_e32 v7, s1
	v_add_co_u32_e32 v5, vcc, s0, v5
	v_addc_co_u32_e32 v6, vcc, v7, v6, vcc
	global_load_dwordx2 v[7:8], v[5:6], off
	ds_read_b64 v[9:10], v0
	s_waitcnt lgkmcnt(0)
	v_mul_f32_e64 v0, v10, -v2
	v_mul_f32_e32 v10, v10, v1
	v_fmac_f32_e32 v0, v1, v9
	v_fmac_f32_e32 v10, v2, v9
	s_waitcnt vmcnt(0)
	v_mul_f32_e64 v1, v4, -v8
	v_mul_f32_e32 v2, v4, v7
	v_fmac_f32_e32 v1, v7, v3
	v_fmac_f32_e32 v2, v8, v3
	v_add_f32_e32 v0, v0, v1
	v_add_f32_e32 v1, v10, v2
	global_store_dwordx2 v[5:6], v[0:1], off
.LBB51_35:
	s_endpgm
	.section	.rodata,"a",@progbits
	.p2align	6, 0x0
	.amdhsa_kernel _ZN9rocsparseL16sddmm_ell_kernelILi512ELi4E21rocsparse_complex_numIfEllS2_S2_S2_EEv20rocsparse_operation_S3_16rocsparse_order_S4_T3_S5_S5_T2_NS_24const_host_device_scalarIT1_EEPKT4_lPKT5_lS9_PT6_PKS5_21rocsparse_index_base_b
		.amdhsa_group_segment_fixed_size 4096
		.amdhsa_private_segment_fixed_size 0
		.amdhsa_kernarg_size 120
		.amdhsa_user_sgpr_count 6
		.amdhsa_user_sgpr_private_segment_buffer 1
		.amdhsa_user_sgpr_dispatch_ptr 0
		.amdhsa_user_sgpr_queue_ptr 0
		.amdhsa_user_sgpr_kernarg_segment_ptr 1
		.amdhsa_user_sgpr_dispatch_id 0
		.amdhsa_user_sgpr_flat_scratch_init 0
		.amdhsa_user_sgpr_private_segment_size 0
		.amdhsa_uses_dynamic_stack 0
		.amdhsa_system_sgpr_private_segment_wavefront_offset 0
		.amdhsa_system_sgpr_workgroup_id_x 1
		.amdhsa_system_sgpr_workgroup_id_y 0
		.amdhsa_system_sgpr_workgroup_id_z 0
		.amdhsa_system_sgpr_workgroup_info 0
		.amdhsa_system_vgpr_workitem_id 0
		.amdhsa_next_free_vgpr 23
		.amdhsa_next_free_sgpr 24
		.amdhsa_reserve_vcc 1
		.amdhsa_reserve_flat_scratch 0
		.amdhsa_float_round_mode_32 0
		.amdhsa_float_round_mode_16_64 0
		.amdhsa_float_denorm_mode_32 3
		.amdhsa_float_denorm_mode_16_64 3
		.amdhsa_dx10_clamp 1
		.amdhsa_ieee_mode 1
		.amdhsa_fp16_overflow 0
		.amdhsa_exception_fp_ieee_invalid_op 0
		.amdhsa_exception_fp_denorm_src 0
		.amdhsa_exception_fp_ieee_div_zero 0
		.amdhsa_exception_fp_ieee_overflow 0
		.amdhsa_exception_fp_ieee_underflow 0
		.amdhsa_exception_fp_ieee_inexact 0
		.amdhsa_exception_int_div_zero 0
	.end_amdhsa_kernel
	.section	.text._ZN9rocsparseL16sddmm_ell_kernelILi512ELi4E21rocsparse_complex_numIfEllS2_S2_S2_EEv20rocsparse_operation_S3_16rocsparse_order_S4_T3_S5_S5_T2_NS_24const_host_device_scalarIT1_EEPKT4_lPKT5_lS9_PT6_PKS5_21rocsparse_index_base_b,"axG",@progbits,_ZN9rocsparseL16sddmm_ell_kernelILi512ELi4E21rocsparse_complex_numIfEllS2_S2_S2_EEv20rocsparse_operation_S3_16rocsparse_order_S4_T3_S5_S5_T2_NS_24const_host_device_scalarIT1_EEPKT4_lPKT5_lS9_PT6_PKS5_21rocsparse_index_base_b,comdat
.Lfunc_end51:
	.size	_ZN9rocsparseL16sddmm_ell_kernelILi512ELi4E21rocsparse_complex_numIfEllS2_S2_S2_EEv20rocsparse_operation_S3_16rocsparse_order_S4_T3_S5_S5_T2_NS_24const_host_device_scalarIT1_EEPKT4_lPKT5_lS9_PT6_PKS5_21rocsparse_index_base_b, .Lfunc_end51-_ZN9rocsparseL16sddmm_ell_kernelILi512ELi4E21rocsparse_complex_numIfEllS2_S2_S2_EEv20rocsparse_operation_S3_16rocsparse_order_S4_T3_S5_S5_T2_NS_24const_host_device_scalarIT1_EEPKT4_lPKT5_lS9_PT6_PKS5_21rocsparse_index_base_b
                                        ; -- End function
	.set _ZN9rocsparseL16sddmm_ell_kernelILi512ELi4E21rocsparse_complex_numIfEllS2_S2_S2_EEv20rocsparse_operation_S3_16rocsparse_order_S4_T3_S5_S5_T2_NS_24const_host_device_scalarIT1_EEPKT4_lPKT5_lS9_PT6_PKS5_21rocsparse_index_base_b.num_vgpr, 23
	.set _ZN9rocsparseL16sddmm_ell_kernelILi512ELi4E21rocsparse_complex_numIfEllS2_S2_S2_EEv20rocsparse_operation_S3_16rocsparse_order_S4_T3_S5_S5_T2_NS_24const_host_device_scalarIT1_EEPKT4_lPKT5_lS9_PT6_PKS5_21rocsparse_index_base_b.num_agpr, 0
	.set _ZN9rocsparseL16sddmm_ell_kernelILi512ELi4E21rocsparse_complex_numIfEllS2_S2_S2_EEv20rocsparse_operation_S3_16rocsparse_order_S4_T3_S5_S5_T2_NS_24const_host_device_scalarIT1_EEPKT4_lPKT5_lS9_PT6_PKS5_21rocsparse_index_base_b.numbered_sgpr, 24
	.set _ZN9rocsparseL16sddmm_ell_kernelILi512ELi4E21rocsparse_complex_numIfEllS2_S2_S2_EEv20rocsparse_operation_S3_16rocsparse_order_S4_T3_S5_S5_T2_NS_24const_host_device_scalarIT1_EEPKT4_lPKT5_lS9_PT6_PKS5_21rocsparse_index_base_b.num_named_barrier, 0
	.set _ZN9rocsparseL16sddmm_ell_kernelILi512ELi4E21rocsparse_complex_numIfEllS2_S2_S2_EEv20rocsparse_operation_S3_16rocsparse_order_S4_T3_S5_S5_T2_NS_24const_host_device_scalarIT1_EEPKT4_lPKT5_lS9_PT6_PKS5_21rocsparse_index_base_b.private_seg_size, 0
	.set _ZN9rocsparseL16sddmm_ell_kernelILi512ELi4E21rocsparse_complex_numIfEllS2_S2_S2_EEv20rocsparse_operation_S3_16rocsparse_order_S4_T3_S5_S5_T2_NS_24const_host_device_scalarIT1_EEPKT4_lPKT5_lS9_PT6_PKS5_21rocsparse_index_base_b.uses_vcc, 1
	.set _ZN9rocsparseL16sddmm_ell_kernelILi512ELi4E21rocsparse_complex_numIfEllS2_S2_S2_EEv20rocsparse_operation_S3_16rocsparse_order_S4_T3_S5_S5_T2_NS_24const_host_device_scalarIT1_EEPKT4_lPKT5_lS9_PT6_PKS5_21rocsparse_index_base_b.uses_flat_scratch, 0
	.set _ZN9rocsparseL16sddmm_ell_kernelILi512ELi4E21rocsparse_complex_numIfEllS2_S2_S2_EEv20rocsparse_operation_S3_16rocsparse_order_S4_T3_S5_S5_T2_NS_24const_host_device_scalarIT1_EEPKT4_lPKT5_lS9_PT6_PKS5_21rocsparse_index_base_b.has_dyn_sized_stack, 0
	.set _ZN9rocsparseL16sddmm_ell_kernelILi512ELi4E21rocsparse_complex_numIfEllS2_S2_S2_EEv20rocsparse_operation_S3_16rocsparse_order_S4_T3_S5_S5_T2_NS_24const_host_device_scalarIT1_EEPKT4_lPKT5_lS9_PT6_PKS5_21rocsparse_index_base_b.has_recursion, 0
	.set _ZN9rocsparseL16sddmm_ell_kernelILi512ELi4E21rocsparse_complex_numIfEllS2_S2_S2_EEv20rocsparse_operation_S3_16rocsparse_order_S4_T3_S5_S5_T2_NS_24const_host_device_scalarIT1_EEPKT4_lPKT5_lS9_PT6_PKS5_21rocsparse_index_base_b.has_indirect_call, 0
	.section	.AMDGPU.csdata,"",@progbits
; Kernel info:
; codeLenInByte = 1872
; TotalNumSgprs: 28
; NumVgprs: 23
; ScratchSize: 0
; MemoryBound: 0
; FloatMode: 240
; IeeeMode: 1
; LDSByteSize: 4096 bytes/workgroup (compile time only)
; SGPRBlocks: 3
; VGPRBlocks: 5
; NumSGPRsForWavesPerEU: 28
; NumVGPRsForWavesPerEU: 23
; Occupancy: 10
; WaveLimiterHint : 0
; COMPUTE_PGM_RSRC2:SCRATCH_EN: 0
; COMPUTE_PGM_RSRC2:USER_SGPR: 6
; COMPUTE_PGM_RSRC2:TRAP_HANDLER: 0
; COMPUTE_PGM_RSRC2:TGID_X_EN: 1
; COMPUTE_PGM_RSRC2:TGID_Y_EN: 0
; COMPUTE_PGM_RSRC2:TGID_Z_EN: 0
; COMPUTE_PGM_RSRC2:TIDIG_COMP_CNT: 0
	.section	.text._ZN9rocsparseL16sddmm_ell_kernelILi512ELi2E21rocsparse_complex_numIfEllS2_S2_S2_EEv20rocsparse_operation_S3_16rocsparse_order_S4_T3_S5_S5_T2_NS_24const_host_device_scalarIT1_EEPKT4_lPKT5_lS9_PT6_PKS5_21rocsparse_index_base_b,"axG",@progbits,_ZN9rocsparseL16sddmm_ell_kernelILi512ELi2E21rocsparse_complex_numIfEllS2_S2_S2_EEv20rocsparse_operation_S3_16rocsparse_order_S4_T3_S5_S5_T2_NS_24const_host_device_scalarIT1_EEPKT4_lPKT5_lS9_PT6_PKS5_21rocsparse_index_base_b,comdat
	.globl	_ZN9rocsparseL16sddmm_ell_kernelILi512ELi2E21rocsparse_complex_numIfEllS2_S2_S2_EEv20rocsparse_operation_S3_16rocsparse_order_S4_T3_S5_S5_T2_NS_24const_host_device_scalarIT1_EEPKT4_lPKT5_lS9_PT6_PKS5_21rocsparse_index_base_b ; -- Begin function _ZN9rocsparseL16sddmm_ell_kernelILi512ELi2E21rocsparse_complex_numIfEllS2_S2_S2_EEv20rocsparse_operation_S3_16rocsparse_order_S4_T3_S5_S5_T2_NS_24const_host_device_scalarIT1_EEPKT4_lPKT5_lS9_PT6_PKS5_21rocsparse_index_base_b
	.p2align	8
	.type	_ZN9rocsparseL16sddmm_ell_kernelILi512ELi2E21rocsparse_complex_numIfEllS2_S2_S2_EEv20rocsparse_operation_S3_16rocsparse_order_S4_T3_S5_S5_T2_NS_24const_host_device_scalarIT1_EEPKT4_lPKT5_lS9_PT6_PKS5_21rocsparse_index_base_b,@function
_ZN9rocsparseL16sddmm_ell_kernelILi512ELi2E21rocsparse_complex_numIfEllS2_S2_S2_EEv20rocsparse_operation_S3_16rocsparse_order_S4_T3_S5_S5_T2_NS_24const_host_device_scalarIT1_EEPKT4_lPKT5_lS9_PT6_PKS5_21rocsparse_index_base_b: ; @_ZN9rocsparseL16sddmm_ell_kernelILi512ELi2E21rocsparse_complex_numIfEllS2_S2_S2_EEv20rocsparse_operation_S3_16rocsparse_order_S4_T3_S5_S5_T2_NS_24const_host_device_scalarIT1_EEPKT4_lPKT5_lS9_PT6_PKS5_21rocsparse_index_base_b
; %bb.0:
	s_load_dwordx2 s[0:1], s[4:5], 0x30
	s_load_dwordx4 s[12:15], s[4:5], 0x50
	s_load_dwordx2 s[16:17], s[4:5], 0x70
	s_add_u32 s2, s4, 48
	s_addc_u32 s3, s5, 0
	s_add_u32 s7, s4, 0x58
	s_addc_u32 s8, s5, 0
	s_waitcnt lgkmcnt(0)
	s_bitcmp1_b32 s17, 0
	s_cselect_b32 s1, s3, s1
	s_cselect_b32 s0, s2, s0
	v_mov_b32_e32 v1, s0
	v_mov_b32_e32 v2, s1
	flat_load_dwordx2 v[1:2], v[1:2]
	s_cselect_b32 s0, s8, s15
	s_cselect_b32 s1, s7, s14
	v_mov_b32_e32 v3, s1
	v_mov_b32_e32 v4, s0
	flat_load_dwordx2 v[3:4], v[3:4]
	s_mov_b64 s[0:1], -1
	s_waitcnt vmcnt(0) lgkmcnt(0)
	v_or_b32_e32 v5, v1, v2
	v_and_b32_e32 v5, 0x7fffffff, v5
	v_cmp_eq_u32_e32 vcc, 0, v5
	s_and_saveexec_b64 s[2:3], vcc
; %bb.1:
	v_cmp_neq_f32_e32 vcc, 1.0, v3
	v_cmp_neq_f32_e64 s[0:1], 0, v4
	s_or_b64 s[0:1], vcc, s[0:1]
	s_orn2_b64 s[0:1], s[0:1], exec
; %bb.2:
	s_or_b64 exec, exec, s[2:3]
	s_and_saveexec_b64 s[2:3], s[0:1]
	s_cbranch_execz .LBB52_33
; %bb.3:
	s_load_dwordx4 s[8:11], s[4:5], 0x20
	v_lshrrev_b32_e32 v16, 1, v0
	v_lshl_or_b32 v5, s6, 8, v16
	v_mov_b32_e32 v6, 0
	s_waitcnt lgkmcnt(0)
	v_cmp_gt_i64_e32 vcc, s[10:11], v[5:6]
	s_and_b64 exec, exec, vcc
	s_cbranch_execz .LBB52_33
; %bb.4:
	s_load_dwordx2 s[10:11], s[4:5], 0x10
	s_load_dwordx2 s[6:7], s[4:5], 0x68
	s_mov_b32 s0, 0
                                        ; implicit-def: $vgpr11_vgpr12
	s_waitcnt lgkmcnt(0)
	s_mov_b32 s1, s11
	s_cmp_lg_u64 s[0:1], 0
	s_cselect_b64 s[0:1], -1, 0
	s_and_saveexec_b64 s[2:3], s[0:1]
	s_xor_b64 s[14:15], exec, s[2:3]
	s_cbranch_execz .LBB52_6
; %bb.5:
	s_ashr_i32 s0, s11, 31
	s_add_u32 s2, s10, s0
	s_mov_b32 s1, s0
	s_addc_u32 s3, s11, s0
	s_xor_b64 s[18:19], s[2:3], s[0:1]
	v_cvt_f32_u32_e32 v7, s18
	v_cvt_f32_u32_e32 v8, s19
	s_sub_u32 s2, 0, s18
	s_subb_u32 s3, 0, s19
	v_add_co_u32_e32 v11, vcc, 0, v5
	v_madmk_f32 v7, v8, 0x4f800000, v7
	v_rcp_f32_e32 v7, v7
	v_mul_f32_e32 v7, 0x5f7ffffc, v7
	v_mul_f32_e32 v8, 0x2f800000, v7
	v_trunc_f32_e32 v8, v8
	v_madmk_f32 v7, v8, 0xcf800000, v7
	v_cvt_u32_f32_e32 v8, v8
	v_cvt_u32_f32_e32 v7, v7
	v_readfirstlane_b32 s11, v8
	v_readfirstlane_b32 s0, v7
	s_mul_i32 s1, s2, s11
	s_mul_hi_u32 s20, s2, s0
	s_mul_i32 s17, s3, s0
	s_add_i32 s1, s20, s1
	s_add_i32 s1, s1, s17
	s_mul_i32 s21, s2, s0
	s_mul_i32 s20, s0, s1
	s_mul_hi_u32 s22, s0, s21
	s_mul_hi_u32 s17, s0, s1
	s_add_u32 s20, s22, s20
	s_addc_u32 s17, 0, s17
	s_mul_hi_u32 s23, s11, s21
	s_mul_i32 s21, s11, s21
	s_add_u32 s20, s20, s21
	s_mul_hi_u32 s22, s11, s1
	s_addc_u32 s17, s17, s23
	s_addc_u32 s20, s22, 0
	s_mul_i32 s1, s11, s1
	s_add_u32 s1, s17, s1
	s_addc_u32 s17, 0, s20
	s_add_u32 s20, s0, s1
	s_cselect_b64 s[0:1], -1, 0
	s_cmp_lg_u64 s[0:1], 0
	s_addc_u32 s11, s11, s17
	s_mul_i32 s0, s2, s11
	s_mul_hi_u32 s1, s2, s20
	s_add_i32 s0, s1, s0
	s_mul_i32 s3, s3, s20
	s_add_i32 s0, s0, s3
	s_mul_i32 s2, s2, s20
	s_mul_hi_u32 s3, s11, s2
	s_mul_i32 s17, s11, s2
	s_mul_i32 s22, s20, s0
	s_mul_hi_u32 s2, s20, s2
	s_mul_hi_u32 s21, s20, s0
	s_add_u32 s2, s2, s22
	s_addc_u32 s21, 0, s21
	s_add_u32 s2, s2, s17
	s_mul_hi_u32 s1, s11, s0
	s_addc_u32 s2, s21, s3
	s_addc_u32 s1, s1, 0
	s_mul_i32 s0, s11, s0
	s_add_u32 s0, s2, s0
	s_addc_u32 s2, 0, s1
	s_add_u32 s3, s20, s0
	s_cselect_b64 s[0:1], -1, 0
	s_cmp_lg_u64 s[0:1], 0
	s_addc_u32 s2, s11, s2
	v_mad_u64_u32 v[7:8], s[0:1], v11, s2, 0
	v_mul_hi_u32 v9, v11, s3
	v_addc_co_u32_e64 v12, s[0:1], 0, 0, vcc
	v_add_co_u32_e32 v13, vcc, v9, v7
	v_addc_co_u32_e32 v14, vcc, 0, v8, vcc
	v_mad_u64_u32 v[7:8], s[0:1], v12, s3, 0
	v_mad_u64_u32 v[9:10], s[0:1], v12, s2, 0
	v_add_co_u32_e32 v7, vcc, v13, v7
	v_addc_co_u32_e32 v7, vcc, v14, v8, vcc
	v_addc_co_u32_e32 v8, vcc, 0, v10, vcc
	v_add_co_u32_e32 v7, vcc, v7, v9
	v_addc_co_u32_e32 v8, vcc, 0, v8, vcc
	v_mul_lo_u32 v9, s19, v7
	v_mul_lo_u32 v10, s18, v8
	v_mad_u64_u32 v[7:8], s[0:1], s18, v7, 0
	v_add3_u32 v8, v8, v10, v9
	v_sub_u32_e32 v9, v12, v8
	v_mov_b32_e32 v10, s19
	v_sub_co_u32_e32 v7, vcc, v11, v7
	v_subb_co_u32_e64 v9, s[0:1], v9, v10, vcc
	v_subrev_co_u32_e64 v11, s[0:1], s18, v7
	v_subbrev_co_u32_e64 v13, s[2:3], 0, v9, s[0:1]
	v_cmp_le_u32_e64 s[2:3], s19, v13
	v_cndmask_b32_e64 v14, 0, -1, s[2:3]
	v_cmp_le_u32_e64 s[2:3], s18, v11
	v_subb_co_u32_e64 v9, s[0:1], v9, v10, s[0:1]
	v_cndmask_b32_e64 v15, 0, -1, s[2:3]
	v_cmp_eq_u32_e64 s[2:3], s19, v13
	v_subrev_co_u32_e64 v10, s[0:1], s18, v11
	v_subb_co_u32_e32 v8, vcc, v12, v8, vcc
	v_cndmask_b32_e64 v14, v14, v15, s[2:3]
	v_subbrev_co_u32_e64 v9, s[0:1], 0, v9, s[0:1]
	v_cmp_le_u32_e32 vcc, s19, v8
	v_cmp_ne_u32_e64 s[0:1], 0, v14
	v_cndmask_b32_e64 v12, 0, -1, vcc
	v_cmp_le_u32_e32 vcc, s18, v7
	v_cndmask_b32_e64 v9, v13, v9, s[0:1]
	v_cndmask_b32_e64 v13, 0, -1, vcc
	v_cmp_eq_u32_e32 vcc, s19, v8
	v_cndmask_b32_e32 v12, v12, v13, vcc
	v_cmp_ne_u32_e32 vcc, 0, v12
	v_cndmask_b32_e32 v8, v8, v9, vcc
	v_cndmask_b32_e64 v9, v11, v10, s[0:1]
	v_cndmask_b32_e32 v7, v7, v9, vcc
	v_subrev_co_u32_e32 v11, vcc, 0, v7
	v_subbrev_co_u32_e32 v12, vcc, 0, v8, vcc
.LBB52_6:
	s_andn2_saveexec_b64 s[0:1], s[14:15]
	s_cbranch_execz .LBB52_8
; %bb.7:
	v_cvt_f32_u32_e32 v7, s10
	s_sub_i32 s2, 0, s10
	v_mov_b32_e32 v12, 0
	v_rcp_iflag_f32_e32 v7, v7
	v_mul_f32_e32 v7, 0x4f7ffffe, v7
	v_cvt_u32_f32_e32 v7, v7
	v_mul_lo_u32 v8, s2, v7
	v_mul_hi_u32 v8, v7, v8
	v_add_u32_e32 v7, v7, v8
	v_mul_hi_u32 v7, v5, v7
	v_mul_lo_u32 v7, v7, s10
	v_sub_u32_e32 v7, v5, v7
	v_subrev_u32_e32 v8, s10, v7
	v_cmp_le_u32_e32 vcc, s10, v7
	v_cndmask_b32_e32 v7, v7, v8, vcc
	v_subrev_u32_e32 v8, s10, v7
	v_cmp_le_u32_e32 vcc, s10, v7
	v_cndmask_b32_e32 v11, v7, v8, vcc
.LBB52_8:
	s_or_b64 exec, exec, s[0:1]
	v_lshlrev_b64 v[5:6], 3, v[5:6]
	v_mov_b32_e32 v8, s7
	v_add_co_u32_e32 v7, vcc, s6, v5
	v_addc_co_u32_e32 v8, vcc, v8, v6, vcc
	global_load_dwordx2 v[7:8], v[7:8], off
	s_mov_b64 s[18:19], -1
	s_waitcnt vmcnt(0)
	v_subrev_co_u32_e32 v9, vcc, s16, v7
	v_subbrev_co_u32_e32 v10, vcc, 0, v8, vcc
	v_cmp_lt_i64_e32 vcc, -1, v[9:10]
	s_and_b64 exec, exec, vcc
	s_cbranch_execz .LBB52_33
; %bb.9:
	s_load_dwordx4 s[0:3], s[4:5], 0x0
	s_load_dwordx2 s[6:7], s[4:5], 0x40
                                        ; implicit-def: $vgpr7_vgpr8
	s_waitcnt lgkmcnt(0)
	s_cmp_eq_u32 s2, 1
	s_cselect_b64 s[10:11], -1, 0
	s_cmpk_eq_i32 s0, 0x6f
	s_cselect_b64 s[14:15], -1, 0
	s_cmpk_lg_i32 s0, 0x6f
	s_cselect_b64 s[16:17], -1, 0
	s_cmp_lg_u32 s2, 1
	s_cbranch_scc0 .LBB52_13
; %bb.10:
	v_mov_b32_e32 v7, v11
	s_andn2_b64 vcc, exec, s[14:15]
	v_mov_b32_e32 v8, v12
	s_cbranch_vccnz .LBB52_12
; %bb.11:
	v_mul_lo_u32 v13, v12, s6
	v_mul_lo_u32 v14, v11, s7
	v_mad_u64_u32 v[7:8], s[18:19], v11, s6, 0
	v_add3_u32 v8, v8, v14, v13
.LBB52_12:
	s_mov_b64 s[18:19], 0
.LBB52_13:
	s_andn2_b64 vcc, exec, s[18:19]
	s_cbranch_vccnz .LBB52_17
; %bb.14:
	s_andn2_b64 vcc, exec, s[16:17]
	s_cbranch_vccnz .LBB52_16
; %bb.15:
	v_mul_lo_u32 v7, v12, s6
	v_mul_lo_u32 v8, v11, s7
	v_mad_u64_u32 v[11:12], s[16:17], v11, s6, 0
	v_add3_u32 v12, v12, v8, v7
.LBB52_16:
	v_mov_b32_e32 v7, v11
	v_mov_b32_e32 v8, v12
.LBB52_17:
	s_cmp_eq_u32 s3, 1
	s_cselect_b64 s[16:17], -1, 0
	s_cmpk_eq_i32 s1, 0x6f
	s_cselect_b64 s[18:19], -1, 0
	s_cmpk_lg_i32 s1, 0x6f
	s_cselect_b64 s[0:1], -1, 0
	s_cmp_lg_u32 s3, 1
	s_cbranch_scc0 .LBB52_21
; %bb.18:
	v_mov_b32_e32 v13, v10
	s_andn2_b64 vcc, exec, s[0:1]
	v_mov_b32_e32 v12, v9
	s_cbranch_vccnz .LBB52_20
; %bb.19:
	v_mul_lo_u32 v11, v10, s12
	v_mul_lo_u32 v14, v9, s13
	v_mad_u64_u32 v[12:13], s[0:1], v9, s12, 0
	v_add3_u32 v13, v13, v14, v11
.LBB52_20:
	s_cbranch_execz .LBB52_22
	s_branch .LBB52_25
.LBB52_21:
                                        ; implicit-def: $vgpr12_vgpr13
.LBB52_22:
	s_andn2_b64 vcc, exec, s[18:19]
	s_cbranch_vccnz .LBB52_24
; %bb.23:
	v_mul_lo_u32 v11, v10, s12
	v_mul_lo_u32 v12, v9, s13
	v_mad_u64_u32 v[9:10], s[0:1], v9, s12, 0
	v_add3_u32 v10, v10, v12, v11
.LBB52_24:
	v_mov_b32_e32 v13, v10
	v_mov_b32_e32 v12, v9
.LBB52_25:
	s_load_dwordx2 s[0:1], s[4:5], 0x60
	v_and_b32_e32 v9, 1, v0
	v_mov_b32_e32 v10, 0
	v_cmp_gt_i64_e32 vcc, s[8:9], v[9:10]
	v_mov_b32_e32 v11, v10
	s_and_saveexec_b64 s[2:3], vcc
	s_cbranch_execz .LBB52_29
; %bb.26:
	s_xor_b64 s[10:11], s[14:15], s[10:11]
	s_and_b64 s[10:11], s[10:11], exec
	s_cselect_b32 s7, 0, s7
	s_cselect_b32 s6, 1, s6
	s_xor_b64 s[10:11], s[18:19], s[16:17]
	s_and_b64 s[10:11], s[10:11], exec
	s_cselect_b32 s11, s13, 0
	s_cselect_b32 s10, s12, 1
	v_mul_lo_u32 v15, s11, v9
	v_mul_lo_u32 v14, s10, v9
	s_load_dwordx2 s[12:13], s[4:5], 0x38
	s_load_dwordx2 s[14:15], s[4:5], 0x48
	v_lshlrev_b64 v[11:12], 3, v[12:13]
	v_lshlrev_b64 v[7:8], 3, v[7:8]
	;; [unrolled: 1-line block ×3, first 2 shown]
	s_lshl_b64 s[4:5], s[10:11], 4
	v_add_co_u32_e32 v0, vcc, v14, v11
	v_addc_co_u32_e32 v11, vcc, v15, v12, vcc
	v_mul_lo_u32 v15, s7, v9
	v_mul_lo_u32 v14, s6, v9
	s_waitcnt lgkmcnt(0)
	v_mov_b32_e32 v12, s15
	v_add_co_u32_e32 v0, vcc, s14, v0
	v_addc_co_u32_e32 v11, vcc, v12, v11, vcc
	v_add_co_u32_e32 v12, vcc, 4, v0
	v_lshlrev_b64 v[14:15], 3, v[14:15]
	v_addc_co_u32_e32 v13, vcc, 0, v11, vcc
	v_add_co_u32_e32 v0, vcc, v14, v7
	v_addc_co_u32_e32 v8, vcc, v15, v8, vcc
	v_mov_b32_e32 v11, s13
	v_add_co_u32_e32 v7, vcc, s12, v0
	v_addc_co_u32_e32 v8, vcc, v11, v8, vcc
	s_lshl_b64 s[6:7], s[6:7], 4
	v_mov_b32_e32 v11, 0
	v_mov_b32_e32 v15, v10
	s_mov_b64 s[10:11], 0
	v_mov_b32_e32 v0, s5
	v_mov_b32_e32 v17, s7
	;; [unrolled: 1-line block ×4, first 2 shown]
.LBB52_27:                              ; =>This Inner Loop Header: Depth=1
	global_load_dwordx2 v[18:19], v[7:8], off
	global_load_dwordx2 v[20:21], v[12:13], off offset:-4
	v_add_co_u32_e32 v14, vcc, 2, v14
	v_addc_co_u32_e32 v15, vcc, 0, v15, vcc
	v_add_co_u32_e32 v12, vcc, s4, v12
	v_addc_co_u32_e32 v13, vcc, v13, v0, vcc
	;; [unrolled: 2-line block ×3, first 2 shown]
	v_cmp_le_i64_e32 vcc, s[8:9], v[14:15]
	s_or_b64 s[10:11], vcc, s[10:11]
	s_waitcnt vmcnt(0)
	v_mul_f32_e64 v22, v21, -v19
	v_mul_f32_e32 v21, v21, v18
	v_fmac_f32_e32 v22, v18, v20
	v_fmac_f32_e32 v21, v19, v20
	v_add_f32_e32 v11, v11, v22
	v_add_f32_e32 v10, v10, v21
	s_andn2_b64 exec, exec, s[10:11]
	s_cbranch_execnz .LBB52_27
; %bb.28:
	s_or_b64 exec, exec, s[10:11]
.LBB52_29:
	s_or_b64 exec, exec, s[2:3]
	v_lshlrev_b32_e32 v0, 4, v16
	v_lshl_or_b32 v7, v9, 3, v0
	v_mov_b32_e32 v12, v10
	v_cmp_eq_u32_e32 vcc, 0, v9
	ds_write_b64 v7, v[11:12]
	s_waitcnt lgkmcnt(0)
	s_barrier
	s_and_saveexec_b64 s[2:3], vcc
	s_cbranch_execz .LBB52_31
; %bb.30:
	ds_read_b64 v[8:9], v0 offset:8
	ds_read_b64 v[10:11], v7
	s_waitcnt lgkmcnt(0)
	v_add_f32_e32 v8, v8, v10
	v_add_f32_e32 v9, v9, v11
	ds_write_b64 v7, v[8:9]
.LBB52_31:
	s_or_b64 exec, exec, s[2:3]
	s_waitcnt lgkmcnt(0)
	s_barrier
	s_and_b64 exec, exec, vcc
	s_cbranch_execz .LBB52_33
; %bb.32:
	v_mov_b32_e32 v7, s1
	v_add_co_u32_e32 v5, vcc, s0, v5
	v_addc_co_u32_e32 v6, vcc, v7, v6, vcc
	global_load_dwordx2 v[7:8], v[5:6], off
	ds_read_b64 v[9:10], v0
	s_waitcnt lgkmcnt(0)
	v_mul_f32_e64 v0, v10, -v2
	v_mul_f32_e32 v10, v10, v1
	v_fmac_f32_e32 v0, v1, v9
	v_fmac_f32_e32 v10, v2, v9
	s_waitcnt vmcnt(0)
	v_mul_f32_e64 v1, v4, -v8
	v_mul_f32_e32 v2, v4, v7
	v_fmac_f32_e32 v1, v7, v3
	v_fmac_f32_e32 v2, v8, v3
	v_add_f32_e32 v0, v0, v1
	v_add_f32_e32 v1, v10, v2
	global_store_dwordx2 v[5:6], v[0:1], off
.LBB52_33:
	s_endpgm
	.section	.rodata,"a",@progbits
	.p2align	6, 0x0
	.amdhsa_kernel _ZN9rocsparseL16sddmm_ell_kernelILi512ELi2E21rocsparse_complex_numIfEllS2_S2_S2_EEv20rocsparse_operation_S3_16rocsparse_order_S4_T3_S5_S5_T2_NS_24const_host_device_scalarIT1_EEPKT4_lPKT5_lS9_PT6_PKS5_21rocsparse_index_base_b
		.amdhsa_group_segment_fixed_size 4096
		.amdhsa_private_segment_fixed_size 0
		.amdhsa_kernarg_size 120
		.amdhsa_user_sgpr_count 6
		.amdhsa_user_sgpr_private_segment_buffer 1
		.amdhsa_user_sgpr_dispatch_ptr 0
		.amdhsa_user_sgpr_queue_ptr 0
		.amdhsa_user_sgpr_kernarg_segment_ptr 1
		.amdhsa_user_sgpr_dispatch_id 0
		.amdhsa_user_sgpr_flat_scratch_init 0
		.amdhsa_user_sgpr_private_segment_size 0
		.amdhsa_uses_dynamic_stack 0
		.amdhsa_system_sgpr_private_segment_wavefront_offset 0
		.amdhsa_system_sgpr_workgroup_id_x 1
		.amdhsa_system_sgpr_workgroup_id_y 0
		.amdhsa_system_sgpr_workgroup_id_z 0
		.amdhsa_system_sgpr_workgroup_info 0
		.amdhsa_system_vgpr_workitem_id 0
		.amdhsa_next_free_vgpr 23
		.amdhsa_next_free_sgpr 24
		.amdhsa_reserve_vcc 1
		.amdhsa_reserve_flat_scratch 0
		.amdhsa_float_round_mode_32 0
		.amdhsa_float_round_mode_16_64 0
		.amdhsa_float_denorm_mode_32 3
		.amdhsa_float_denorm_mode_16_64 3
		.amdhsa_dx10_clamp 1
		.amdhsa_ieee_mode 1
		.amdhsa_fp16_overflow 0
		.amdhsa_exception_fp_ieee_invalid_op 0
		.amdhsa_exception_fp_denorm_src 0
		.amdhsa_exception_fp_ieee_div_zero 0
		.amdhsa_exception_fp_ieee_overflow 0
		.amdhsa_exception_fp_ieee_underflow 0
		.amdhsa_exception_fp_ieee_inexact 0
		.amdhsa_exception_int_div_zero 0
	.end_amdhsa_kernel
	.section	.text._ZN9rocsparseL16sddmm_ell_kernelILi512ELi2E21rocsparse_complex_numIfEllS2_S2_S2_EEv20rocsparse_operation_S3_16rocsparse_order_S4_T3_S5_S5_T2_NS_24const_host_device_scalarIT1_EEPKT4_lPKT5_lS9_PT6_PKS5_21rocsparse_index_base_b,"axG",@progbits,_ZN9rocsparseL16sddmm_ell_kernelILi512ELi2E21rocsparse_complex_numIfEllS2_S2_S2_EEv20rocsparse_operation_S3_16rocsparse_order_S4_T3_S5_S5_T2_NS_24const_host_device_scalarIT1_EEPKT4_lPKT5_lS9_PT6_PKS5_21rocsparse_index_base_b,comdat
.Lfunc_end52:
	.size	_ZN9rocsparseL16sddmm_ell_kernelILi512ELi2E21rocsparse_complex_numIfEllS2_S2_S2_EEv20rocsparse_operation_S3_16rocsparse_order_S4_T3_S5_S5_T2_NS_24const_host_device_scalarIT1_EEPKT4_lPKT5_lS9_PT6_PKS5_21rocsparse_index_base_b, .Lfunc_end52-_ZN9rocsparseL16sddmm_ell_kernelILi512ELi2E21rocsparse_complex_numIfEllS2_S2_S2_EEv20rocsparse_operation_S3_16rocsparse_order_S4_T3_S5_S5_T2_NS_24const_host_device_scalarIT1_EEPKT4_lPKT5_lS9_PT6_PKS5_21rocsparse_index_base_b
                                        ; -- End function
	.set _ZN9rocsparseL16sddmm_ell_kernelILi512ELi2E21rocsparse_complex_numIfEllS2_S2_S2_EEv20rocsparse_operation_S3_16rocsparse_order_S4_T3_S5_S5_T2_NS_24const_host_device_scalarIT1_EEPKT4_lPKT5_lS9_PT6_PKS5_21rocsparse_index_base_b.num_vgpr, 23
	.set _ZN9rocsparseL16sddmm_ell_kernelILi512ELi2E21rocsparse_complex_numIfEllS2_S2_S2_EEv20rocsparse_operation_S3_16rocsparse_order_S4_T3_S5_S5_T2_NS_24const_host_device_scalarIT1_EEPKT4_lPKT5_lS9_PT6_PKS5_21rocsparse_index_base_b.num_agpr, 0
	.set _ZN9rocsparseL16sddmm_ell_kernelILi512ELi2E21rocsparse_complex_numIfEllS2_S2_S2_EEv20rocsparse_operation_S3_16rocsparse_order_S4_T3_S5_S5_T2_NS_24const_host_device_scalarIT1_EEPKT4_lPKT5_lS9_PT6_PKS5_21rocsparse_index_base_b.numbered_sgpr, 24
	.set _ZN9rocsparseL16sddmm_ell_kernelILi512ELi2E21rocsparse_complex_numIfEllS2_S2_S2_EEv20rocsparse_operation_S3_16rocsparse_order_S4_T3_S5_S5_T2_NS_24const_host_device_scalarIT1_EEPKT4_lPKT5_lS9_PT6_PKS5_21rocsparse_index_base_b.num_named_barrier, 0
	.set _ZN9rocsparseL16sddmm_ell_kernelILi512ELi2E21rocsparse_complex_numIfEllS2_S2_S2_EEv20rocsparse_operation_S3_16rocsparse_order_S4_T3_S5_S5_T2_NS_24const_host_device_scalarIT1_EEPKT4_lPKT5_lS9_PT6_PKS5_21rocsparse_index_base_b.private_seg_size, 0
	.set _ZN9rocsparseL16sddmm_ell_kernelILi512ELi2E21rocsparse_complex_numIfEllS2_S2_S2_EEv20rocsparse_operation_S3_16rocsparse_order_S4_T3_S5_S5_T2_NS_24const_host_device_scalarIT1_EEPKT4_lPKT5_lS9_PT6_PKS5_21rocsparse_index_base_b.uses_vcc, 1
	.set _ZN9rocsparseL16sddmm_ell_kernelILi512ELi2E21rocsparse_complex_numIfEllS2_S2_S2_EEv20rocsparse_operation_S3_16rocsparse_order_S4_T3_S5_S5_T2_NS_24const_host_device_scalarIT1_EEPKT4_lPKT5_lS9_PT6_PKS5_21rocsparse_index_base_b.uses_flat_scratch, 0
	.set _ZN9rocsparseL16sddmm_ell_kernelILi512ELi2E21rocsparse_complex_numIfEllS2_S2_S2_EEv20rocsparse_operation_S3_16rocsparse_order_S4_T3_S5_S5_T2_NS_24const_host_device_scalarIT1_EEPKT4_lPKT5_lS9_PT6_PKS5_21rocsparse_index_base_b.has_dyn_sized_stack, 0
	.set _ZN9rocsparseL16sddmm_ell_kernelILi512ELi2E21rocsparse_complex_numIfEllS2_S2_S2_EEv20rocsparse_operation_S3_16rocsparse_order_S4_T3_S5_S5_T2_NS_24const_host_device_scalarIT1_EEPKT4_lPKT5_lS9_PT6_PKS5_21rocsparse_index_base_b.has_recursion, 0
	.set _ZN9rocsparseL16sddmm_ell_kernelILi512ELi2E21rocsparse_complex_numIfEllS2_S2_S2_EEv20rocsparse_operation_S3_16rocsparse_order_S4_T3_S5_S5_T2_NS_24const_host_device_scalarIT1_EEPKT4_lPKT5_lS9_PT6_PKS5_21rocsparse_index_base_b.has_indirect_call, 0
	.section	.AMDGPU.csdata,"",@progbits
; Kernel info:
; codeLenInByte = 1812
; TotalNumSgprs: 28
; NumVgprs: 23
; ScratchSize: 0
; MemoryBound: 0
; FloatMode: 240
; IeeeMode: 1
; LDSByteSize: 4096 bytes/workgroup (compile time only)
; SGPRBlocks: 3
; VGPRBlocks: 5
; NumSGPRsForWavesPerEU: 28
; NumVGPRsForWavesPerEU: 23
; Occupancy: 10
; WaveLimiterHint : 0
; COMPUTE_PGM_RSRC2:SCRATCH_EN: 0
; COMPUTE_PGM_RSRC2:USER_SGPR: 6
; COMPUTE_PGM_RSRC2:TRAP_HANDLER: 0
; COMPUTE_PGM_RSRC2:TGID_X_EN: 1
; COMPUTE_PGM_RSRC2:TGID_Y_EN: 0
; COMPUTE_PGM_RSRC2:TGID_Z_EN: 0
; COMPUTE_PGM_RSRC2:TIDIG_COMP_CNT: 0
	.section	.text._ZN9rocsparseL16sddmm_ell_kernelILi512ELi1E21rocsparse_complex_numIfEllS2_S2_S2_EEv20rocsparse_operation_S3_16rocsparse_order_S4_T3_S5_S5_T2_NS_24const_host_device_scalarIT1_EEPKT4_lPKT5_lS9_PT6_PKS5_21rocsparse_index_base_b,"axG",@progbits,_ZN9rocsparseL16sddmm_ell_kernelILi512ELi1E21rocsparse_complex_numIfEllS2_S2_S2_EEv20rocsparse_operation_S3_16rocsparse_order_S4_T3_S5_S5_T2_NS_24const_host_device_scalarIT1_EEPKT4_lPKT5_lS9_PT6_PKS5_21rocsparse_index_base_b,comdat
	.globl	_ZN9rocsparseL16sddmm_ell_kernelILi512ELi1E21rocsparse_complex_numIfEllS2_S2_S2_EEv20rocsparse_operation_S3_16rocsparse_order_S4_T3_S5_S5_T2_NS_24const_host_device_scalarIT1_EEPKT4_lPKT5_lS9_PT6_PKS5_21rocsparse_index_base_b ; -- Begin function _ZN9rocsparseL16sddmm_ell_kernelILi512ELi1E21rocsparse_complex_numIfEllS2_S2_S2_EEv20rocsparse_operation_S3_16rocsparse_order_S4_T3_S5_S5_T2_NS_24const_host_device_scalarIT1_EEPKT4_lPKT5_lS9_PT6_PKS5_21rocsparse_index_base_b
	.p2align	8
	.type	_ZN9rocsparseL16sddmm_ell_kernelILi512ELi1E21rocsparse_complex_numIfEllS2_S2_S2_EEv20rocsparse_operation_S3_16rocsparse_order_S4_T3_S5_S5_T2_NS_24const_host_device_scalarIT1_EEPKT4_lPKT5_lS9_PT6_PKS5_21rocsparse_index_base_b,@function
_ZN9rocsparseL16sddmm_ell_kernelILi512ELi1E21rocsparse_complex_numIfEllS2_S2_S2_EEv20rocsparse_operation_S3_16rocsparse_order_S4_T3_S5_S5_T2_NS_24const_host_device_scalarIT1_EEPKT4_lPKT5_lS9_PT6_PKS5_21rocsparse_index_base_b: ; @_ZN9rocsparseL16sddmm_ell_kernelILi512ELi1E21rocsparse_complex_numIfEllS2_S2_S2_EEv20rocsparse_operation_S3_16rocsparse_order_S4_T3_S5_S5_T2_NS_24const_host_device_scalarIT1_EEPKT4_lPKT5_lS9_PT6_PKS5_21rocsparse_index_base_b
; %bb.0:
	s_load_dwordx2 s[0:1], s[4:5], 0x30
	s_load_dwordx4 s[12:15], s[4:5], 0x50
	s_load_dwordx2 s[16:17], s[4:5], 0x70
	s_add_u32 s2, s4, 48
	s_addc_u32 s3, s5, 0
	s_add_u32 s7, s4, 0x58
	s_addc_u32 s8, s5, 0
	s_waitcnt lgkmcnt(0)
	s_bitcmp1_b32 s17, 0
	s_cselect_b32 s1, s3, s1
	s_cselect_b32 s0, s2, s0
	v_mov_b32_e32 v1, s0
	v_mov_b32_e32 v2, s1
	flat_load_dwordx2 v[1:2], v[1:2]
	s_cselect_b32 s0, s8, s15
	s_cselect_b32 s1, s7, s14
	v_mov_b32_e32 v3, s1
	v_mov_b32_e32 v4, s0
	flat_load_dwordx2 v[3:4], v[3:4]
	s_mov_b64 s[0:1], -1
	s_waitcnt vmcnt(0) lgkmcnt(0)
	v_or_b32_e32 v5, v1, v2
	v_and_b32_e32 v5, 0x7fffffff, v5
	v_cmp_eq_u32_e32 vcc, 0, v5
	s_and_saveexec_b64 s[2:3], vcc
; %bb.1:
	v_cmp_neq_f32_e32 vcc, 1.0, v3
	v_cmp_neq_f32_e64 s[0:1], 0, v4
	s_or_b64 s[0:1], vcc, s[0:1]
	s_orn2_b64 s[0:1], s[0:1], exec
; %bb.2:
	s_or_b64 exec, exec, s[2:3]
	s_and_saveexec_b64 s[2:3], s[0:1]
	s_cbranch_execz .LBB53_30
; %bb.3:
	s_load_dwordx4 s[8:11], s[4:5], 0x20
	v_lshl_or_b32 v5, s6, 9, v0
	v_mov_b32_e32 v6, 0
	s_waitcnt lgkmcnt(0)
	v_cmp_gt_i64_e32 vcc, s[10:11], v[5:6]
	s_and_b64 exec, exec, vcc
	s_cbranch_execz .LBB53_30
; %bb.4:
	s_load_dwordx2 s[10:11], s[4:5], 0x10
	s_load_dwordx2 s[6:7], s[4:5], 0x68
	s_mov_b32 s0, 0
                                        ; implicit-def: $vgpr9_vgpr10
	s_waitcnt lgkmcnt(0)
	s_mov_b32 s1, s11
	s_cmp_lg_u64 s[0:1], 0
	s_cselect_b64 s[0:1], -1, 0
	s_and_saveexec_b64 s[2:3], s[0:1]
	s_xor_b64 s[14:15], exec, s[2:3]
	s_cbranch_execz .LBB53_6
; %bb.5:
	s_ashr_i32 s0, s11, 31
	s_add_u32 s2, s10, s0
	s_mov_b32 s1, s0
	s_addc_u32 s3, s11, s0
	s_xor_b64 s[18:19], s[2:3], s[0:1]
	v_cvt_f32_u32_e32 v7, s18
	v_cvt_f32_u32_e32 v8, s19
	s_sub_u32 s2, 0, s18
	s_subb_u32 s3, 0, s19
	v_add_co_u32_e32 v11, vcc, 0, v5
	v_madmk_f32 v7, v8, 0x4f800000, v7
	v_rcp_f32_e32 v7, v7
	v_mul_f32_e32 v7, 0x5f7ffffc, v7
	v_mul_f32_e32 v8, 0x2f800000, v7
	v_trunc_f32_e32 v8, v8
	v_madmk_f32 v7, v8, 0xcf800000, v7
	v_cvt_u32_f32_e32 v8, v8
	v_cvt_u32_f32_e32 v7, v7
	v_readfirstlane_b32 s11, v8
	v_readfirstlane_b32 s0, v7
	s_mul_i32 s1, s2, s11
	s_mul_hi_u32 s20, s2, s0
	s_mul_i32 s17, s3, s0
	s_add_i32 s1, s20, s1
	s_add_i32 s1, s1, s17
	s_mul_i32 s21, s2, s0
	s_mul_i32 s20, s0, s1
	s_mul_hi_u32 s22, s0, s21
	s_mul_hi_u32 s17, s0, s1
	s_add_u32 s20, s22, s20
	s_addc_u32 s17, 0, s17
	s_mul_hi_u32 s23, s11, s21
	s_mul_i32 s21, s11, s21
	s_add_u32 s20, s20, s21
	s_mul_hi_u32 s22, s11, s1
	s_addc_u32 s17, s17, s23
	s_addc_u32 s20, s22, 0
	s_mul_i32 s1, s11, s1
	s_add_u32 s1, s17, s1
	s_addc_u32 s17, 0, s20
	s_add_u32 s20, s0, s1
	s_cselect_b64 s[0:1], -1, 0
	s_cmp_lg_u64 s[0:1], 0
	s_addc_u32 s11, s11, s17
	s_mul_i32 s0, s2, s11
	s_mul_hi_u32 s1, s2, s20
	s_add_i32 s0, s1, s0
	s_mul_i32 s3, s3, s20
	s_add_i32 s0, s0, s3
	s_mul_i32 s2, s2, s20
	s_mul_hi_u32 s3, s11, s2
	s_mul_i32 s17, s11, s2
	s_mul_i32 s22, s20, s0
	s_mul_hi_u32 s2, s20, s2
	s_mul_hi_u32 s21, s20, s0
	s_add_u32 s2, s2, s22
	s_addc_u32 s21, 0, s21
	s_add_u32 s2, s2, s17
	s_mul_hi_u32 s1, s11, s0
	s_addc_u32 s2, s21, s3
	s_addc_u32 s1, s1, 0
	s_mul_i32 s0, s11, s0
	s_add_u32 s0, s2, s0
	s_addc_u32 s2, 0, s1
	s_add_u32 s3, s20, s0
	s_cselect_b64 s[0:1], -1, 0
	s_cmp_lg_u64 s[0:1], 0
	s_addc_u32 s2, s11, s2
	v_mad_u64_u32 v[7:8], s[0:1], v11, s2, 0
	v_mul_hi_u32 v9, v11, s3
	v_addc_co_u32_e64 v12, s[0:1], 0, 0, vcc
	v_add_co_u32_e32 v13, vcc, v9, v7
	v_addc_co_u32_e32 v14, vcc, 0, v8, vcc
	v_mad_u64_u32 v[7:8], s[0:1], v12, s3, 0
	v_mad_u64_u32 v[9:10], s[0:1], v12, s2, 0
	v_add_co_u32_e32 v7, vcc, v13, v7
	v_addc_co_u32_e32 v7, vcc, v14, v8, vcc
	v_addc_co_u32_e32 v8, vcc, 0, v10, vcc
	v_add_co_u32_e32 v7, vcc, v7, v9
	v_addc_co_u32_e32 v8, vcc, 0, v8, vcc
	v_mul_lo_u32 v9, s19, v7
	v_mul_lo_u32 v10, s18, v8
	v_mad_u64_u32 v[7:8], s[0:1], s18, v7, 0
	v_add3_u32 v8, v8, v10, v9
	v_sub_u32_e32 v9, v12, v8
	v_mov_b32_e32 v10, s19
	v_sub_co_u32_e32 v7, vcc, v11, v7
	v_subb_co_u32_e64 v9, s[0:1], v9, v10, vcc
	v_subrev_co_u32_e64 v11, s[0:1], s18, v7
	v_subbrev_co_u32_e64 v13, s[2:3], 0, v9, s[0:1]
	v_cmp_le_u32_e64 s[2:3], s19, v13
	v_cndmask_b32_e64 v14, 0, -1, s[2:3]
	v_cmp_le_u32_e64 s[2:3], s18, v11
	v_subb_co_u32_e64 v9, s[0:1], v9, v10, s[0:1]
	v_cndmask_b32_e64 v15, 0, -1, s[2:3]
	v_cmp_eq_u32_e64 s[2:3], s19, v13
	v_subrev_co_u32_e64 v10, s[0:1], s18, v11
	v_subb_co_u32_e32 v8, vcc, v12, v8, vcc
	v_cndmask_b32_e64 v14, v14, v15, s[2:3]
	v_subbrev_co_u32_e64 v9, s[0:1], 0, v9, s[0:1]
	v_cmp_le_u32_e32 vcc, s19, v8
	v_cmp_ne_u32_e64 s[0:1], 0, v14
	v_cndmask_b32_e64 v12, 0, -1, vcc
	v_cmp_le_u32_e32 vcc, s18, v7
	v_cndmask_b32_e64 v9, v13, v9, s[0:1]
	v_cndmask_b32_e64 v13, 0, -1, vcc
	v_cmp_eq_u32_e32 vcc, s19, v8
	v_cndmask_b32_e32 v12, v12, v13, vcc
	v_cmp_ne_u32_e32 vcc, 0, v12
	v_cndmask_b32_e32 v8, v8, v9, vcc
	v_cndmask_b32_e64 v9, v11, v10, s[0:1]
	v_cndmask_b32_e32 v7, v7, v9, vcc
	v_subrev_co_u32_e32 v9, vcc, 0, v7
	v_subbrev_co_u32_e32 v10, vcc, 0, v8, vcc
.LBB53_6:
	s_andn2_saveexec_b64 s[0:1], s[14:15]
	s_cbranch_execz .LBB53_8
; %bb.7:
	v_cvt_f32_u32_e32 v7, s10
	s_sub_i32 s2, 0, s10
	v_mov_b32_e32 v10, 0
	v_rcp_iflag_f32_e32 v7, v7
	v_mul_f32_e32 v7, 0x4f7ffffe, v7
	v_cvt_u32_f32_e32 v7, v7
	v_mul_lo_u32 v8, s2, v7
	v_mul_hi_u32 v8, v7, v8
	v_add_u32_e32 v7, v7, v8
	v_mul_hi_u32 v7, v5, v7
	v_mul_lo_u32 v7, v7, s10
	v_sub_u32_e32 v7, v5, v7
	v_subrev_u32_e32 v8, s10, v7
	v_cmp_le_u32_e32 vcc, s10, v7
	v_cndmask_b32_e32 v7, v7, v8, vcc
	v_subrev_u32_e32 v8, s10, v7
	v_cmp_le_u32_e32 vcc, s10, v7
	v_cndmask_b32_e32 v9, v7, v8, vcc
.LBB53_8:
	s_or_b64 exec, exec, s[0:1]
	v_lshlrev_b64 v[5:6], 3, v[5:6]
	v_mov_b32_e32 v8, s7
	v_add_co_u32_e32 v7, vcc, s6, v5
	v_addc_co_u32_e32 v8, vcc, v8, v6, vcc
	global_load_dwordx2 v[7:8], v[7:8], off
	s_mov_b64 s[18:19], -1
	s_waitcnt vmcnt(0)
	v_subrev_co_u32_e32 v7, vcc, s16, v7
	v_subbrev_co_u32_e32 v8, vcc, 0, v8, vcc
	v_cmp_lt_i64_e32 vcc, -1, v[7:8]
	s_and_b64 exec, exec, vcc
	s_cbranch_execz .LBB53_30
; %bb.9:
	s_load_dwordx4 s[0:3], s[4:5], 0x0
	s_load_dwordx2 s[6:7], s[4:5], 0x40
                                        ; implicit-def: $vgpr11_vgpr12
	s_waitcnt lgkmcnt(0)
	s_cmp_eq_u32 s2, 1
	s_cselect_b64 s[10:11], -1, 0
	s_cmpk_eq_i32 s0, 0x6f
	s_cselect_b64 s[14:15], -1, 0
	s_cmpk_lg_i32 s0, 0x6f
	s_cselect_b64 s[16:17], -1, 0
	s_cmp_lg_u32 s2, 1
	s_cbranch_scc0 .LBB53_13
; %bb.10:
	v_mov_b32_e32 v12, v10
	s_andn2_b64 vcc, exec, s[14:15]
	v_mov_b32_e32 v11, v9
	s_cbranch_vccnz .LBB53_12
; %bb.11:
	v_mul_lo_u32 v13, v10, s6
	v_mul_lo_u32 v14, v9, s7
	v_mad_u64_u32 v[11:12], s[18:19], v9, s6, 0
	v_add3_u32 v12, v12, v14, v13
.LBB53_12:
	s_mov_b64 s[18:19], 0
.LBB53_13:
	s_andn2_b64 vcc, exec, s[18:19]
	s_cbranch_vccnz .LBB53_17
; %bb.14:
	s_andn2_b64 vcc, exec, s[16:17]
	s_cbranch_vccnz .LBB53_16
; %bb.15:
	v_mul_lo_u32 v11, v10, s6
	v_mul_lo_u32 v12, v9, s7
	v_mad_u64_u32 v[9:10], s[16:17], v9, s6, 0
	v_add3_u32 v10, v10, v12, v11
.LBB53_16:
	v_mov_b32_e32 v12, v10
	v_mov_b32_e32 v11, v9
.LBB53_17:
	s_cmp_eq_u32 s3, 1
	s_cselect_b64 s[16:17], -1, 0
	s_cmpk_eq_i32 s1, 0x6f
	s_cselect_b64 s[18:19], -1, 0
	s_cmpk_lg_i32 s1, 0x6f
	s_cselect_b64 s[0:1], -1, 0
	s_cmp_lg_u32 s3, 1
	s_cbranch_scc0 .LBB53_21
; %bb.18:
	v_mov_b32_e32 v10, v8
	s_andn2_b64 vcc, exec, s[0:1]
	v_mov_b32_e32 v9, v7
	s_cbranch_vccnz .LBB53_20
; %bb.19:
	v_mul_lo_u32 v13, v8, s12
	v_mul_lo_u32 v14, v7, s13
	v_mad_u64_u32 v[9:10], s[0:1], v7, s12, 0
	v_add3_u32 v10, v10, v14, v13
.LBB53_20:
	s_cbranch_execz .LBB53_22
	s_branch .LBB53_25
.LBB53_21:
                                        ; implicit-def: $vgpr9_vgpr10
.LBB53_22:
	s_andn2_b64 vcc, exec, s[18:19]
	s_cbranch_vccnz .LBB53_24
; %bb.23:
	v_mul_lo_u32 v9, v8, s12
	v_mul_lo_u32 v10, v7, s13
	v_mad_u64_u32 v[7:8], s[0:1], v7, s12, 0
	v_add3_u32 v8, v8, v10, v9
.LBB53_24:
	v_mov_b32_e32 v10, v8
	v_mov_b32_e32 v9, v7
.LBB53_25:
	s_load_dwordx2 s[0:1], s[4:5], 0x60
	v_cmp_lt_i64_e64 s[2:3], s[8:9], 1
	s_and_b64 vcc, exec, s[2:3]
	s_cbranch_vccnz .LBB53_28
; %bb.26:
	s_load_dwordx2 s[2:3], s[4:5], 0x38
	s_load_dwordx2 s[20:21], s[4:5], 0x48
	v_lshlrev_b64 v[7:8], 3, v[11:12]
	v_lshlrev_b64 v[9:10], 3, v[9:10]
	s_waitcnt lgkmcnt(0)
	v_mov_b32_e32 v11, s3
	v_add_co_u32_e32 v7, vcc, s2, v7
	s_xor_b64 s[2:3], s[14:15], s[10:11]
	s_and_b64 s[2:3], s[2:3], exec
	v_addc_co_u32_e32 v8, vcc, v11, v8, vcc
	s_cselect_b32 s5, 0, s7
	s_cselect_b32 s4, 1, s6
	s_xor_b64 s[2:3], s[18:19], s[16:17]
	s_and_b64 s[2:3], s[2:3], exec
	v_mov_b32_e32 v11, s21
	v_add_co_u32_e32 v9, vcc, s20, v9
	s_cselect_b32 s3, s13, 0
	s_cselect_b32 s2, s12, 1
	v_addc_co_u32_e32 v10, vcc, v11, v10, vcc
	v_add_co_u32_e32 v11, vcc, 4, v9
	s_lshl_b64 s[2:3], s[2:3], 3
	s_lshl_b64 s[4:5], s[4:5], 3
	v_addc_co_u32_e32 v12, vcc, 0, v10, vcc
	v_mov_b32_e32 v10, 0
	v_mov_b32_e32 v13, s3
	;; [unrolled: 1-line block ×4, first 2 shown]
.LBB53_27:                              ; =>This Inner Loop Header: Depth=1
	global_load_dwordx2 v[15:16], v[7:8], off
	global_load_dwordx2 v[17:18], v[11:12], off offset:-4
	v_add_co_u32_e32 v11, vcc, s2, v11
	s_add_u32 s8, s8, -1
	v_addc_co_u32_e32 v12, vcc, v12, v13, vcc
	v_add_co_u32_e32 v7, vcc, s4, v7
	s_addc_u32 s9, s9, -1
	v_addc_co_u32_e32 v8, vcc, v8, v14, vcc
	s_cmp_eq_u64 s[8:9], 0
	s_waitcnt vmcnt(0)
	v_mul_f32_e64 v19, v18, -v16
	v_mul_f32_e32 v18, v18, v15
	v_fmac_f32_e32 v19, v15, v17
	v_fmac_f32_e32 v18, v16, v17
	v_add_f32_e32 v9, v9, v19
	v_add_f32_e32 v10, v10, v18
	s_cbranch_scc0 .LBB53_27
	s_branch .LBB53_29
.LBB53_28:
	v_mov_b32_e32 v10, 0
	v_mov_b32_e32 v9, 0
.LBB53_29:
	s_waitcnt lgkmcnt(0)
	v_mov_b32_e32 v7, s1
	v_add_co_u32_e32 v5, vcc, s0, v5
	v_lshlrev_b32_e32 v0, 3, v0
	v_addc_co_u32_e32 v6, vcc, v7, v6, vcc
	ds_write_b64 v0, v[9:10]
	s_waitcnt lgkmcnt(0)
	s_barrier
	global_load_dwordx2 v[7:8], v[5:6], off
	ds_read_b64 v[9:10], v0
	s_waitcnt lgkmcnt(0)
	v_mul_f32_e64 v0, v10, -v2
	v_mul_f32_e32 v10, v10, v1
	v_fmac_f32_e32 v0, v1, v9
	v_fmac_f32_e32 v10, v2, v9
	s_waitcnt vmcnt(0)
	v_mul_f32_e64 v1, v4, -v8
	v_mul_f32_e32 v2, v4, v7
	v_fmac_f32_e32 v1, v7, v3
	v_fmac_f32_e32 v2, v8, v3
	v_add_f32_e32 v0, v0, v1
	v_add_f32_e32 v1, v10, v2
	global_store_dwordx2 v[5:6], v[0:1], off
.LBB53_30:
	s_endpgm
	.section	.rodata,"a",@progbits
	.p2align	6, 0x0
	.amdhsa_kernel _ZN9rocsparseL16sddmm_ell_kernelILi512ELi1E21rocsparse_complex_numIfEllS2_S2_S2_EEv20rocsparse_operation_S3_16rocsparse_order_S4_T3_S5_S5_T2_NS_24const_host_device_scalarIT1_EEPKT4_lPKT5_lS9_PT6_PKS5_21rocsparse_index_base_b
		.amdhsa_group_segment_fixed_size 4096
		.amdhsa_private_segment_fixed_size 0
		.amdhsa_kernarg_size 120
		.amdhsa_user_sgpr_count 6
		.amdhsa_user_sgpr_private_segment_buffer 1
		.amdhsa_user_sgpr_dispatch_ptr 0
		.amdhsa_user_sgpr_queue_ptr 0
		.amdhsa_user_sgpr_kernarg_segment_ptr 1
		.amdhsa_user_sgpr_dispatch_id 0
		.amdhsa_user_sgpr_flat_scratch_init 0
		.amdhsa_user_sgpr_private_segment_size 0
		.amdhsa_uses_dynamic_stack 0
		.amdhsa_system_sgpr_private_segment_wavefront_offset 0
		.amdhsa_system_sgpr_workgroup_id_x 1
		.amdhsa_system_sgpr_workgroup_id_y 0
		.amdhsa_system_sgpr_workgroup_id_z 0
		.amdhsa_system_sgpr_workgroup_info 0
		.amdhsa_system_vgpr_workitem_id 0
		.amdhsa_next_free_vgpr 20
		.amdhsa_next_free_sgpr 24
		.amdhsa_reserve_vcc 1
		.amdhsa_reserve_flat_scratch 0
		.amdhsa_float_round_mode_32 0
		.amdhsa_float_round_mode_16_64 0
		.amdhsa_float_denorm_mode_32 3
		.amdhsa_float_denorm_mode_16_64 3
		.amdhsa_dx10_clamp 1
		.amdhsa_ieee_mode 1
		.amdhsa_fp16_overflow 0
		.amdhsa_exception_fp_ieee_invalid_op 0
		.amdhsa_exception_fp_denorm_src 0
		.amdhsa_exception_fp_ieee_div_zero 0
		.amdhsa_exception_fp_ieee_overflow 0
		.amdhsa_exception_fp_ieee_underflow 0
		.amdhsa_exception_fp_ieee_inexact 0
		.amdhsa_exception_int_div_zero 0
	.end_amdhsa_kernel
	.section	.text._ZN9rocsparseL16sddmm_ell_kernelILi512ELi1E21rocsparse_complex_numIfEllS2_S2_S2_EEv20rocsparse_operation_S3_16rocsparse_order_S4_T3_S5_S5_T2_NS_24const_host_device_scalarIT1_EEPKT4_lPKT5_lS9_PT6_PKS5_21rocsparse_index_base_b,"axG",@progbits,_ZN9rocsparseL16sddmm_ell_kernelILi512ELi1E21rocsparse_complex_numIfEllS2_S2_S2_EEv20rocsparse_operation_S3_16rocsparse_order_S4_T3_S5_S5_T2_NS_24const_host_device_scalarIT1_EEPKT4_lPKT5_lS9_PT6_PKS5_21rocsparse_index_base_b,comdat
.Lfunc_end53:
	.size	_ZN9rocsparseL16sddmm_ell_kernelILi512ELi1E21rocsparse_complex_numIfEllS2_S2_S2_EEv20rocsparse_operation_S3_16rocsparse_order_S4_T3_S5_S5_T2_NS_24const_host_device_scalarIT1_EEPKT4_lPKT5_lS9_PT6_PKS5_21rocsparse_index_base_b, .Lfunc_end53-_ZN9rocsparseL16sddmm_ell_kernelILi512ELi1E21rocsparse_complex_numIfEllS2_S2_S2_EEv20rocsparse_operation_S3_16rocsparse_order_S4_T3_S5_S5_T2_NS_24const_host_device_scalarIT1_EEPKT4_lPKT5_lS9_PT6_PKS5_21rocsparse_index_base_b
                                        ; -- End function
	.set _ZN9rocsparseL16sddmm_ell_kernelILi512ELi1E21rocsparse_complex_numIfEllS2_S2_S2_EEv20rocsparse_operation_S3_16rocsparse_order_S4_T3_S5_S5_T2_NS_24const_host_device_scalarIT1_EEPKT4_lPKT5_lS9_PT6_PKS5_21rocsparse_index_base_b.num_vgpr, 20
	.set _ZN9rocsparseL16sddmm_ell_kernelILi512ELi1E21rocsparse_complex_numIfEllS2_S2_S2_EEv20rocsparse_operation_S3_16rocsparse_order_S4_T3_S5_S5_T2_NS_24const_host_device_scalarIT1_EEPKT4_lPKT5_lS9_PT6_PKS5_21rocsparse_index_base_b.num_agpr, 0
	.set _ZN9rocsparseL16sddmm_ell_kernelILi512ELi1E21rocsparse_complex_numIfEllS2_S2_S2_EEv20rocsparse_operation_S3_16rocsparse_order_S4_T3_S5_S5_T2_NS_24const_host_device_scalarIT1_EEPKT4_lPKT5_lS9_PT6_PKS5_21rocsparse_index_base_b.numbered_sgpr, 24
	.set _ZN9rocsparseL16sddmm_ell_kernelILi512ELi1E21rocsparse_complex_numIfEllS2_S2_S2_EEv20rocsparse_operation_S3_16rocsparse_order_S4_T3_S5_S5_T2_NS_24const_host_device_scalarIT1_EEPKT4_lPKT5_lS9_PT6_PKS5_21rocsparse_index_base_b.num_named_barrier, 0
	.set _ZN9rocsparseL16sddmm_ell_kernelILi512ELi1E21rocsparse_complex_numIfEllS2_S2_S2_EEv20rocsparse_operation_S3_16rocsparse_order_S4_T3_S5_S5_T2_NS_24const_host_device_scalarIT1_EEPKT4_lPKT5_lS9_PT6_PKS5_21rocsparse_index_base_b.private_seg_size, 0
	.set _ZN9rocsparseL16sddmm_ell_kernelILi512ELi1E21rocsparse_complex_numIfEllS2_S2_S2_EEv20rocsparse_operation_S3_16rocsparse_order_S4_T3_S5_S5_T2_NS_24const_host_device_scalarIT1_EEPKT4_lPKT5_lS9_PT6_PKS5_21rocsparse_index_base_b.uses_vcc, 1
	.set _ZN9rocsparseL16sddmm_ell_kernelILi512ELi1E21rocsparse_complex_numIfEllS2_S2_S2_EEv20rocsparse_operation_S3_16rocsparse_order_S4_T3_S5_S5_T2_NS_24const_host_device_scalarIT1_EEPKT4_lPKT5_lS9_PT6_PKS5_21rocsparse_index_base_b.uses_flat_scratch, 0
	.set _ZN9rocsparseL16sddmm_ell_kernelILi512ELi1E21rocsparse_complex_numIfEllS2_S2_S2_EEv20rocsparse_operation_S3_16rocsparse_order_S4_T3_S5_S5_T2_NS_24const_host_device_scalarIT1_EEPKT4_lPKT5_lS9_PT6_PKS5_21rocsparse_index_base_b.has_dyn_sized_stack, 0
	.set _ZN9rocsparseL16sddmm_ell_kernelILi512ELi1E21rocsparse_complex_numIfEllS2_S2_S2_EEv20rocsparse_operation_S3_16rocsparse_order_S4_T3_S5_S5_T2_NS_24const_host_device_scalarIT1_EEPKT4_lPKT5_lS9_PT6_PKS5_21rocsparse_index_base_b.has_recursion, 0
	.set _ZN9rocsparseL16sddmm_ell_kernelILi512ELi1E21rocsparse_complex_numIfEllS2_S2_S2_EEv20rocsparse_operation_S3_16rocsparse_order_S4_T3_S5_S5_T2_NS_24const_host_device_scalarIT1_EEPKT4_lPKT5_lS9_PT6_PKS5_21rocsparse_index_base_b.has_indirect_call, 0
	.section	.AMDGPU.csdata,"",@progbits
; Kernel info:
; codeLenInByte = 1644
; TotalNumSgprs: 28
; NumVgprs: 20
; ScratchSize: 0
; MemoryBound: 0
; FloatMode: 240
; IeeeMode: 1
; LDSByteSize: 4096 bytes/workgroup (compile time only)
; SGPRBlocks: 3
; VGPRBlocks: 4
; NumSGPRsForWavesPerEU: 28
; NumVGPRsForWavesPerEU: 20
; Occupancy: 10
; WaveLimiterHint : 0
; COMPUTE_PGM_RSRC2:SCRATCH_EN: 0
; COMPUTE_PGM_RSRC2:USER_SGPR: 6
; COMPUTE_PGM_RSRC2:TRAP_HANDLER: 0
; COMPUTE_PGM_RSRC2:TGID_X_EN: 1
; COMPUTE_PGM_RSRC2:TGID_Y_EN: 0
; COMPUTE_PGM_RSRC2:TGID_Z_EN: 0
; COMPUTE_PGM_RSRC2:TIDIG_COMP_CNT: 0
	.section	.text._ZN9rocsparseL23sddmm_ell_sample_kernelILi16ELi32E21rocsparse_complex_numIdElS2_EEvT2_S3_PKT3_lS3_PS4_PKS3_21rocsparse_index_base_,"axG",@progbits,_ZN9rocsparseL23sddmm_ell_sample_kernelILi16ELi32E21rocsparse_complex_numIdElS2_EEvT2_S3_PKT3_lS3_PS4_PKS3_21rocsparse_index_base_,comdat
	.globl	_ZN9rocsparseL23sddmm_ell_sample_kernelILi16ELi32E21rocsparse_complex_numIdElS2_EEvT2_S3_PKT3_lS3_PS4_PKS3_21rocsparse_index_base_ ; -- Begin function _ZN9rocsparseL23sddmm_ell_sample_kernelILi16ELi32E21rocsparse_complex_numIdElS2_EEvT2_S3_PKT3_lS3_PS4_PKS3_21rocsparse_index_base_
	.p2align	8
	.type	_ZN9rocsparseL23sddmm_ell_sample_kernelILi16ELi32E21rocsparse_complex_numIdElS2_EEvT2_S3_PKT3_lS3_PS4_PKS3_21rocsparse_index_base_,@function
_ZN9rocsparseL23sddmm_ell_sample_kernelILi16ELi32E21rocsparse_complex_numIdElS2_EEvT2_S3_PKT3_lS3_PS4_PKS3_21rocsparse_index_base_: ; @_ZN9rocsparseL23sddmm_ell_sample_kernelILi16ELi32E21rocsparse_complex_numIdElS2_EEvT2_S3_PKT3_lS3_PS4_PKS3_21rocsparse_index_base_
; %bb.0:
	s_load_dwordx4 s[0:3], s[4:5], 0x18
	v_lshrrev_b32_e32 v1, 5, v0
	v_lshl_or_b32 v2, s6, 4, v1
	v_mov_b32_e32 v1, 0
	v_mov_b32_e32 v3, v1
	s_waitcnt lgkmcnt(0)
	v_cmp_gt_i64_e32 vcc, s[2:3], v[2:3]
	s_and_saveexec_b64 s[2:3], vcc
	s_cbranch_execz .LBB54_6
; %bb.1:
	s_load_dwordx4 s[8:11], s[4:5], 0x0
	v_and_b32_e32 v0, 31, v0
	s_waitcnt lgkmcnt(0)
	v_cmp_gt_i64_e32 vcc, s[8:9], v[0:1]
	s_and_b64 exec, exec, vcc
	s_cbranch_execz .LBB54_6
; %bb.2:
	v_mad_u64_u32 v[4:5], s[2:3], s8, v2, v[0:1]
	s_load_dwordx4 s[12:15], s[4:5], 0x28
	s_load_dwordx2 s[16:17], s[4:5], 0x10
	s_load_dword s6, s[4:5], 0x38
	v_mov_b32_e32 v3, v5
	v_mad_u64_u32 v[2:3], s[2:3], s9, v2, v[3:4]
	s_waitcnt lgkmcnt(0)
	v_mov_b32_e32 v6, s15
	v_mov_b32_e32 v7, s17
	;; [unrolled: 1-line block ×3, first 2 shown]
	v_lshlrev_b64 v[2:3], 3, v[4:5]
	v_lshlrev_b64 v[4:5], 4, v[4:5]
	v_add_co_u32_e32 v2, vcc, s14, v2
	v_addc_co_u32_e32 v3, vcc, v6, v3, vcc
	v_mov_b32_e32 v6, s13
	v_add_co_u32_e32 v4, vcc, s12, v4
	v_addc_co_u32_e32 v5, vcc, v6, v5, vcc
	v_lshlrev_b32_e32 v6, 4, v0
	v_add_co_u32_e32 v6, vcc, s16, v6
	s_lshl_b64 s[2:3], s[0:1], 4
	v_addc_co_u32_e32 v7, vcc, 0, v7, vcc
	s_mov_b64 s[4:5], 0
	s_branch .LBB54_4
.LBB54_3:                               ;   in Loop: Header=BB54_4 Depth=1
	s_or_b64 exec, exec, s[0:1]
	v_add_co_u32_e32 v0, vcc, 32, v0
	v_addc_co_u32_e32 v1, vcc, 0, v1, vcc
	v_add_co_u32_e32 v2, vcc, 0x100, v2
	v_addc_co_u32_e32 v3, vcc, 0, v3, vcc
	v_add_co_u32_e32 v4, vcc, 0x200, v4
	v_addc_co_u32_e32 v5, vcc, 0, v5, vcc
	v_cmp_le_i64_e64 s[0:1], s[8:9], v[0:1]
	v_add_co_u32_e32 v6, vcc, 0x200, v6
	s_or_b64 s[4:5], s[0:1], s[4:5]
	v_addc_co_u32_e32 v7, vcc, 0, v7, vcc
	s_andn2_b64 exec, exec, s[4:5]
	s_cbranch_execz .LBB54_6
.LBB54_4:                               ; =>This Inner Loop Header: Depth=1
	global_load_dwordx2 v[8:9], v[2:3], off
	s_waitcnt vmcnt(0)
	v_subrev_co_u32_e32 v8, vcc, s6, v8
	v_subbrev_co_u32_e32 v9, vcc, 0, v9, vcc
	v_cmp_lt_i64_e32 vcc, -1, v[8:9]
	v_cmp_gt_i64_e64 s[0:1], s[10:11], v[8:9]
	s_and_b64 s[12:13], vcc, s[0:1]
	s_and_saveexec_b64 s[0:1], s[12:13]
	s_cbranch_execz .LBB54_3
; %bb.5:                                ;   in Loop: Header=BB54_4 Depth=1
	v_mad_u64_u32 v[10:11], s[12:13], s2, v8, v[6:7]
	v_mul_lo_u32 v9, s2, v9
	v_mul_lo_u32 v8, s3, v8
	v_add3_u32 v11, v8, v11, v9
	global_load_dwordx4 v[8:11], v[10:11], off
	s_waitcnt vmcnt(0)
	global_store_dwordx4 v[4:5], v[8:11], off
	s_branch .LBB54_3
.LBB54_6:
	s_endpgm
	.section	.rodata,"a",@progbits
	.p2align	6, 0x0
	.amdhsa_kernel _ZN9rocsparseL23sddmm_ell_sample_kernelILi16ELi32E21rocsparse_complex_numIdElS2_EEvT2_S3_PKT3_lS3_PS4_PKS3_21rocsparse_index_base_
		.amdhsa_group_segment_fixed_size 0
		.amdhsa_private_segment_fixed_size 0
		.amdhsa_kernarg_size 60
		.amdhsa_user_sgpr_count 6
		.amdhsa_user_sgpr_private_segment_buffer 1
		.amdhsa_user_sgpr_dispatch_ptr 0
		.amdhsa_user_sgpr_queue_ptr 0
		.amdhsa_user_sgpr_kernarg_segment_ptr 1
		.amdhsa_user_sgpr_dispatch_id 0
		.amdhsa_user_sgpr_flat_scratch_init 0
		.amdhsa_user_sgpr_private_segment_size 0
		.amdhsa_uses_dynamic_stack 0
		.amdhsa_system_sgpr_private_segment_wavefront_offset 0
		.amdhsa_system_sgpr_workgroup_id_x 1
		.amdhsa_system_sgpr_workgroup_id_y 0
		.amdhsa_system_sgpr_workgroup_id_z 0
		.amdhsa_system_sgpr_workgroup_info 0
		.amdhsa_system_vgpr_workitem_id 0
		.amdhsa_next_free_vgpr 12
		.amdhsa_next_free_sgpr 18
		.amdhsa_reserve_vcc 1
		.amdhsa_reserve_flat_scratch 0
		.amdhsa_float_round_mode_32 0
		.amdhsa_float_round_mode_16_64 0
		.amdhsa_float_denorm_mode_32 3
		.amdhsa_float_denorm_mode_16_64 3
		.amdhsa_dx10_clamp 1
		.amdhsa_ieee_mode 1
		.amdhsa_fp16_overflow 0
		.amdhsa_exception_fp_ieee_invalid_op 0
		.amdhsa_exception_fp_denorm_src 0
		.amdhsa_exception_fp_ieee_div_zero 0
		.amdhsa_exception_fp_ieee_overflow 0
		.amdhsa_exception_fp_ieee_underflow 0
		.amdhsa_exception_fp_ieee_inexact 0
		.amdhsa_exception_int_div_zero 0
	.end_amdhsa_kernel
	.section	.text._ZN9rocsparseL23sddmm_ell_sample_kernelILi16ELi32E21rocsparse_complex_numIdElS2_EEvT2_S3_PKT3_lS3_PS4_PKS3_21rocsparse_index_base_,"axG",@progbits,_ZN9rocsparseL23sddmm_ell_sample_kernelILi16ELi32E21rocsparse_complex_numIdElS2_EEvT2_S3_PKT3_lS3_PS4_PKS3_21rocsparse_index_base_,comdat
.Lfunc_end54:
	.size	_ZN9rocsparseL23sddmm_ell_sample_kernelILi16ELi32E21rocsparse_complex_numIdElS2_EEvT2_S3_PKT3_lS3_PS4_PKS3_21rocsparse_index_base_, .Lfunc_end54-_ZN9rocsparseL23sddmm_ell_sample_kernelILi16ELi32E21rocsparse_complex_numIdElS2_EEvT2_S3_PKT3_lS3_PS4_PKS3_21rocsparse_index_base_
                                        ; -- End function
	.set _ZN9rocsparseL23sddmm_ell_sample_kernelILi16ELi32E21rocsparse_complex_numIdElS2_EEvT2_S3_PKT3_lS3_PS4_PKS3_21rocsparse_index_base_.num_vgpr, 12
	.set _ZN9rocsparseL23sddmm_ell_sample_kernelILi16ELi32E21rocsparse_complex_numIdElS2_EEvT2_S3_PKT3_lS3_PS4_PKS3_21rocsparse_index_base_.num_agpr, 0
	.set _ZN9rocsparseL23sddmm_ell_sample_kernelILi16ELi32E21rocsparse_complex_numIdElS2_EEvT2_S3_PKT3_lS3_PS4_PKS3_21rocsparse_index_base_.numbered_sgpr, 18
	.set _ZN9rocsparseL23sddmm_ell_sample_kernelILi16ELi32E21rocsparse_complex_numIdElS2_EEvT2_S3_PKT3_lS3_PS4_PKS3_21rocsparse_index_base_.num_named_barrier, 0
	.set _ZN9rocsparseL23sddmm_ell_sample_kernelILi16ELi32E21rocsparse_complex_numIdElS2_EEvT2_S3_PKT3_lS3_PS4_PKS3_21rocsparse_index_base_.private_seg_size, 0
	.set _ZN9rocsparseL23sddmm_ell_sample_kernelILi16ELi32E21rocsparse_complex_numIdElS2_EEvT2_S3_PKT3_lS3_PS4_PKS3_21rocsparse_index_base_.uses_vcc, 1
	.set _ZN9rocsparseL23sddmm_ell_sample_kernelILi16ELi32E21rocsparse_complex_numIdElS2_EEvT2_S3_PKT3_lS3_PS4_PKS3_21rocsparse_index_base_.uses_flat_scratch, 0
	.set _ZN9rocsparseL23sddmm_ell_sample_kernelILi16ELi32E21rocsparse_complex_numIdElS2_EEvT2_S3_PKT3_lS3_PS4_PKS3_21rocsparse_index_base_.has_dyn_sized_stack, 0
	.set _ZN9rocsparseL23sddmm_ell_sample_kernelILi16ELi32E21rocsparse_complex_numIdElS2_EEvT2_S3_PKT3_lS3_PS4_PKS3_21rocsparse_index_base_.has_recursion, 0
	.set _ZN9rocsparseL23sddmm_ell_sample_kernelILi16ELi32E21rocsparse_complex_numIdElS2_EEvT2_S3_PKT3_lS3_PS4_PKS3_21rocsparse_index_base_.has_indirect_call, 0
	.section	.AMDGPU.csdata,"",@progbits
; Kernel info:
; codeLenInByte = 364
; TotalNumSgprs: 22
; NumVgprs: 12
; ScratchSize: 0
; MemoryBound: 0
; FloatMode: 240
; IeeeMode: 1
; LDSByteSize: 0 bytes/workgroup (compile time only)
; SGPRBlocks: 2
; VGPRBlocks: 2
; NumSGPRsForWavesPerEU: 22
; NumVGPRsForWavesPerEU: 12
; Occupancy: 10
; WaveLimiterHint : 0
; COMPUTE_PGM_RSRC2:SCRATCH_EN: 0
; COMPUTE_PGM_RSRC2:USER_SGPR: 6
; COMPUTE_PGM_RSRC2:TRAP_HANDLER: 0
; COMPUTE_PGM_RSRC2:TGID_X_EN: 1
; COMPUTE_PGM_RSRC2:TGID_Y_EN: 0
; COMPUTE_PGM_RSRC2:TGID_Z_EN: 0
; COMPUTE_PGM_RSRC2:TIDIG_COMP_CNT: 0
	.section	.text._ZN9rocsparseL23sddmm_ell_sample_kernelILi16ELi64E21rocsparse_complex_numIdElS2_EEvT2_S3_PKT3_lS3_PS4_PKS3_21rocsparse_index_base_,"axG",@progbits,_ZN9rocsparseL23sddmm_ell_sample_kernelILi16ELi64E21rocsparse_complex_numIdElS2_EEvT2_S3_PKT3_lS3_PS4_PKS3_21rocsparse_index_base_,comdat
	.globl	_ZN9rocsparseL23sddmm_ell_sample_kernelILi16ELi64E21rocsparse_complex_numIdElS2_EEvT2_S3_PKT3_lS3_PS4_PKS3_21rocsparse_index_base_ ; -- Begin function _ZN9rocsparseL23sddmm_ell_sample_kernelILi16ELi64E21rocsparse_complex_numIdElS2_EEvT2_S3_PKT3_lS3_PS4_PKS3_21rocsparse_index_base_
	.p2align	8
	.type	_ZN9rocsparseL23sddmm_ell_sample_kernelILi16ELi64E21rocsparse_complex_numIdElS2_EEvT2_S3_PKT3_lS3_PS4_PKS3_21rocsparse_index_base_,@function
_ZN9rocsparseL23sddmm_ell_sample_kernelILi16ELi64E21rocsparse_complex_numIdElS2_EEvT2_S3_PKT3_lS3_PS4_PKS3_21rocsparse_index_base_: ; @_ZN9rocsparseL23sddmm_ell_sample_kernelILi16ELi64E21rocsparse_complex_numIdElS2_EEvT2_S3_PKT3_lS3_PS4_PKS3_21rocsparse_index_base_
; %bb.0:
	s_load_dwordx4 s[0:3], s[4:5], 0x18
	v_lshrrev_b32_e32 v1, 6, v0
	v_lshl_or_b32 v2, s6, 4, v1
	v_mov_b32_e32 v1, 0
	v_mov_b32_e32 v3, v1
	s_waitcnt lgkmcnt(0)
	v_cmp_gt_i64_e32 vcc, s[2:3], v[2:3]
	s_and_saveexec_b64 s[2:3], vcc
	s_cbranch_execz .LBB55_6
; %bb.1:
	s_load_dwordx4 s[8:11], s[4:5], 0x0
	v_and_b32_e32 v0, 63, v0
	s_waitcnt lgkmcnt(0)
	v_cmp_gt_i64_e32 vcc, s[8:9], v[0:1]
	s_and_b64 exec, exec, vcc
	s_cbranch_execz .LBB55_6
; %bb.2:
	v_mad_u64_u32 v[4:5], s[2:3], s8, v2, v[0:1]
	s_load_dwordx4 s[12:15], s[4:5], 0x28
	s_load_dwordx2 s[16:17], s[4:5], 0x10
	s_load_dword s6, s[4:5], 0x38
	v_mov_b32_e32 v3, v5
	v_mad_u64_u32 v[2:3], s[2:3], s9, v2, v[3:4]
	s_waitcnt lgkmcnt(0)
	v_mov_b32_e32 v6, s15
	v_mov_b32_e32 v7, s17
	;; [unrolled: 1-line block ×3, first 2 shown]
	v_lshlrev_b64 v[2:3], 3, v[4:5]
	v_lshlrev_b64 v[4:5], 4, v[4:5]
	v_add_co_u32_e32 v2, vcc, s14, v2
	v_addc_co_u32_e32 v3, vcc, v6, v3, vcc
	v_mov_b32_e32 v6, s13
	v_add_co_u32_e32 v4, vcc, s12, v4
	v_addc_co_u32_e32 v5, vcc, v6, v5, vcc
	v_lshlrev_b32_e32 v6, 4, v0
	v_add_co_u32_e32 v6, vcc, s16, v6
	s_lshl_b64 s[2:3], s[0:1], 4
	v_addc_co_u32_e32 v7, vcc, 0, v7, vcc
	s_mov_b64 s[4:5], 0
	s_branch .LBB55_4
.LBB55_3:                               ;   in Loop: Header=BB55_4 Depth=1
	s_or_b64 exec, exec, s[0:1]
	v_add_co_u32_e32 v0, vcc, 64, v0
	v_addc_co_u32_e32 v1, vcc, 0, v1, vcc
	v_add_co_u32_e32 v2, vcc, 0x200, v2
	v_addc_co_u32_e32 v3, vcc, 0, v3, vcc
	;; [unrolled: 2-line block ×3, first 2 shown]
	v_cmp_le_i64_e64 s[0:1], s[8:9], v[0:1]
	v_add_co_u32_e32 v6, vcc, 0x400, v6
	s_or_b64 s[4:5], s[0:1], s[4:5]
	v_addc_co_u32_e32 v7, vcc, 0, v7, vcc
	s_andn2_b64 exec, exec, s[4:5]
	s_cbranch_execz .LBB55_6
.LBB55_4:                               ; =>This Inner Loop Header: Depth=1
	global_load_dwordx2 v[8:9], v[2:3], off
	s_waitcnt vmcnt(0)
	v_subrev_co_u32_e32 v8, vcc, s6, v8
	v_subbrev_co_u32_e32 v9, vcc, 0, v9, vcc
	v_cmp_lt_i64_e32 vcc, -1, v[8:9]
	v_cmp_gt_i64_e64 s[0:1], s[10:11], v[8:9]
	s_and_b64 s[12:13], vcc, s[0:1]
	s_and_saveexec_b64 s[0:1], s[12:13]
	s_cbranch_execz .LBB55_3
; %bb.5:                                ;   in Loop: Header=BB55_4 Depth=1
	v_mad_u64_u32 v[10:11], s[12:13], s2, v8, v[6:7]
	v_mul_lo_u32 v9, s2, v9
	v_mul_lo_u32 v8, s3, v8
	v_add3_u32 v11, v8, v11, v9
	global_load_dwordx4 v[8:11], v[10:11], off
	s_waitcnt vmcnt(0)
	global_store_dwordx4 v[4:5], v[8:11], off
	s_branch .LBB55_3
.LBB55_6:
	s_endpgm
	.section	.rodata,"a",@progbits
	.p2align	6, 0x0
	.amdhsa_kernel _ZN9rocsparseL23sddmm_ell_sample_kernelILi16ELi64E21rocsparse_complex_numIdElS2_EEvT2_S3_PKT3_lS3_PS4_PKS3_21rocsparse_index_base_
		.amdhsa_group_segment_fixed_size 0
		.amdhsa_private_segment_fixed_size 0
		.amdhsa_kernarg_size 60
		.amdhsa_user_sgpr_count 6
		.amdhsa_user_sgpr_private_segment_buffer 1
		.amdhsa_user_sgpr_dispatch_ptr 0
		.amdhsa_user_sgpr_queue_ptr 0
		.amdhsa_user_sgpr_kernarg_segment_ptr 1
		.amdhsa_user_sgpr_dispatch_id 0
		.amdhsa_user_sgpr_flat_scratch_init 0
		.amdhsa_user_sgpr_private_segment_size 0
		.amdhsa_uses_dynamic_stack 0
		.amdhsa_system_sgpr_private_segment_wavefront_offset 0
		.amdhsa_system_sgpr_workgroup_id_x 1
		.amdhsa_system_sgpr_workgroup_id_y 0
		.amdhsa_system_sgpr_workgroup_id_z 0
		.amdhsa_system_sgpr_workgroup_info 0
		.amdhsa_system_vgpr_workitem_id 0
		.amdhsa_next_free_vgpr 12
		.amdhsa_next_free_sgpr 18
		.amdhsa_reserve_vcc 1
		.amdhsa_reserve_flat_scratch 0
		.amdhsa_float_round_mode_32 0
		.amdhsa_float_round_mode_16_64 0
		.amdhsa_float_denorm_mode_32 3
		.amdhsa_float_denorm_mode_16_64 3
		.amdhsa_dx10_clamp 1
		.amdhsa_ieee_mode 1
		.amdhsa_fp16_overflow 0
		.amdhsa_exception_fp_ieee_invalid_op 0
		.amdhsa_exception_fp_denorm_src 0
		.amdhsa_exception_fp_ieee_div_zero 0
		.amdhsa_exception_fp_ieee_overflow 0
		.amdhsa_exception_fp_ieee_underflow 0
		.amdhsa_exception_fp_ieee_inexact 0
		.amdhsa_exception_int_div_zero 0
	.end_amdhsa_kernel
	.section	.text._ZN9rocsparseL23sddmm_ell_sample_kernelILi16ELi64E21rocsparse_complex_numIdElS2_EEvT2_S3_PKT3_lS3_PS4_PKS3_21rocsparse_index_base_,"axG",@progbits,_ZN9rocsparseL23sddmm_ell_sample_kernelILi16ELi64E21rocsparse_complex_numIdElS2_EEvT2_S3_PKT3_lS3_PS4_PKS3_21rocsparse_index_base_,comdat
.Lfunc_end55:
	.size	_ZN9rocsparseL23sddmm_ell_sample_kernelILi16ELi64E21rocsparse_complex_numIdElS2_EEvT2_S3_PKT3_lS3_PS4_PKS3_21rocsparse_index_base_, .Lfunc_end55-_ZN9rocsparseL23sddmm_ell_sample_kernelILi16ELi64E21rocsparse_complex_numIdElS2_EEvT2_S3_PKT3_lS3_PS4_PKS3_21rocsparse_index_base_
                                        ; -- End function
	.set _ZN9rocsparseL23sddmm_ell_sample_kernelILi16ELi64E21rocsparse_complex_numIdElS2_EEvT2_S3_PKT3_lS3_PS4_PKS3_21rocsparse_index_base_.num_vgpr, 12
	.set _ZN9rocsparseL23sddmm_ell_sample_kernelILi16ELi64E21rocsparse_complex_numIdElS2_EEvT2_S3_PKT3_lS3_PS4_PKS3_21rocsparse_index_base_.num_agpr, 0
	.set _ZN9rocsparseL23sddmm_ell_sample_kernelILi16ELi64E21rocsparse_complex_numIdElS2_EEvT2_S3_PKT3_lS3_PS4_PKS3_21rocsparse_index_base_.numbered_sgpr, 18
	.set _ZN9rocsparseL23sddmm_ell_sample_kernelILi16ELi64E21rocsparse_complex_numIdElS2_EEvT2_S3_PKT3_lS3_PS4_PKS3_21rocsparse_index_base_.num_named_barrier, 0
	.set _ZN9rocsparseL23sddmm_ell_sample_kernelILi16ELi64E21rocsparse_complex_numIdElS2_EEvT2_S3_PKT3_lS3_PS4_PKS3_21rocsparse_index_base_.private_seg_size, 0
	.set _ZN9rocsparseL23sddmm_ell_sample_kernelILi16ELi64E21rocsparse_complex_numIdElS2_EEvT2_S3_PKT3_lS3_PS4_PKS3_21rocsparse_index_base_.uses_vcc, 1
	.set _ZN9rocsparseL23sddmm_ell_sample_kernelILi16ELi64E21rocsparse_complex_numIdElS2_EEvT2_S3_PKT3_lS3_PS4_PKS3_21rocsparse_index_base_.uses_flat_scratch, 0
	.set _ZN9rocsparseL23sddmm_ell_sample_kernelILi16ELi64E21rocsparse_complex_numIdElS2_EEvT2_S3_PKT3_lS3_PS4_PKS3_21rocsparse_index_base_.has_dyn_sized_stack, 0
	.set _ZN9rocsparseL23sddmm_ell_sample_kernelILi16ELi64E21rocsparse_complex_numIdElS2_EEvT2_S3_PKT3_lS3_PS4_PKS3_21rocsparse_index_base_.has_recursion, 0
	.set _ZN9rocsparseL23sddmm_ell_sample_kernelILi16ELi64E21rocsparse_complex_numIdElS2_EEvT2_S3_PKT3_lS3_PS4_PKS3_21rocsparse_index_base_.has_indirect_call, 0
	.section	.AMDGPU.csdata,"",@progbits
; Kernel info:
; codeLenInByte = 364
; TotalNumSgprs: 22
; NumVgprs: 12
; ScratchSize: 0
; MemoryBound: 0
; FloatMode: 240
; IeeeMode: 1
; LDSByteSize: 0 bytes/workgroup (compile time only)
; SGPRBlocks: 2
; VGPRBlocks: 2
; NumSGPRsForWavesPerEU: 22
; NumVGPRsForWavesPerEU: 12
; Occupancy: 10
; WaveLimiterHint : 0
; COMPUTE_PGM_RSRC2:SCRATCH_EN: 0
; COMPUTE_PGM_RSRC2:USER_SGPR: 6
; COMPUTE_PGM_RSRC2:TRAP_HANDLER: 0
; COMPUTE_PGM_RSRC2:TGID_X_EN: 1
; COMPUTE_PGM_RSRC2:TGID_Y_EN: 0
; COMPUTE_PGM_RSRC2:TGID_Z_EN: 0
; COMPUTE_PGM_RSRC2:TIDIG_COMP_CNT: 0
	.section	.text._ZN9rocsparseL16sddmm_ell_kernelILi512ELi8E21rocsparse_complex_numIdEllS2_S2_S2_EEv20rocsparse_operation_S3_16rocsparse_order_S4_T3_S5_S5_T2_NS_24const_host_device_scalarIT1_EEPKT4_lPKT5_lS9_PT6_PKS5_21rocsparse_index_base_b,"axG",@progbits,_ZN9rocsparseL16sddmm_ell_kernelILi512ELi8E21rocsparse_complex_numIdEllS2_S2_S2_EEv20rocsparse_operation_S3_16rocsparse_order_S4_T3_S5_S5_T2_NS_24const_host_device_scalarIT1_EEPKT4_lPKT5_lS9_PT6_PKS5_21rocsparse_index_base_b,comdat
	.globl	_ZN9rocsparseL16sddmm_ell_kernelILi512ELi8E21rocsparse_complex_numIdEllS2_S2_S2_EEv20rocsparse_operation_S3_16rocsparse_order_S4_T3_S5_S5_T2_NS_24const_host_device_scalarIT1_EEPKT4_lPKT5_lS9_PT6_PKS5_21rocsparse_index_base_b ; -- Begin function _ZN9rocsparseL16sddmm_ell_kernelILi512ELi8E21rocsparse_complex_numIdEllS2_S2_S2_EEv20rocsparse_operation_S3_16rocsparse_order_S4_T3_S5_S5_T2_NS_24const_host_device_scalarIT1_EEPKT4_lPKT5_lS9_PT6_PKS5_21rocsparse_index_base_b
	.p2align	8
	.type	_ZN9rocsparseL16sddmm_ell_kernelILi512ELi8E21rocsparse_complex_numIdEllS2_S2_S2_EEv20rocsparse_operation_S3_16rocsparse_order_S4_T3_S5_S5_T2_NS_24const_host_device_scalarIT1_EEPKT4_lPKT5_lS9_PT6_PKS5_21rocsparse_index_base_b,@function
_ZN9rocsparseL16sddmm_ell_kernelILi512ELi8E21rocsparse_complex_numIdEllS2_S2_S2_EEv20rocsparse_operation_S3_16rocsparse_order_S4_T3_S5_S5_T2_NS_24const_host_device_scalarIT1_EEPKT4_lPKT5_lS9_PT6_PKS5_21rocsparse_index_base_b: ; @_ZN9rocsparseL16sddmm_ell_kernelILi512ELi8E21rocsparse_complex_numIdEllS2_S2_S2_EEv20rocsparse_operation_S3_16rocsparse_order_S4_T3_S5_S5_T2_NS_24const_host_device_scalarIT1_EEPKT4_lPKT5_lS9_PT6_PKS5_21rocsparse_index_base_b
; %bb.0:
	s_load_dwordx2 s[0:1], s[4:5], 0x30
	s_load_dwordx4 s[12:15], s[4:5], 0x58
	s_load_dwordx2 s[16:17], s[4:5], 0x80
	s_add_u32 s2, s4, 48
	s_addc_u32 s3, s5, 0
	s_add_u32 s7, s4, 0x60
	s_addc_u32 s8, s5, 0
	s_waitcnt lgkmcnt(0)
	s_bitcmp1_b32 s17, 0
	s_cselect_b32 s1, s3, s1
	s_cselect_b32 s0, s2, s0
	v_mov_b32_e32 v1, s0
	v_mov_b32_e32 v2, s1
	flat_load_dwordx4 v[1:4], v[1:2]
	s_cselect_b32 s0, s8, s15
	s_cselect_b32 s1, s7, s14
	v_mov_b32_e32 v5, s1
	v_mov_b32_e32 v6, s0
	flat_load_dwordx4 v[5:8], v[5:6]
	s_waitcnt vmcnt(0) lgkmcnt(0)
	v_cmp_eq_f64_e32 vcc, 0, v[1:2]
	v_cmp_eq_f64_e64 s[0:1], 0, v[3:4]
	s_and_b64 s[8:9], vcc, s[0:1]
	s_mov_b64 s[0:1], -1
	s_and_saveexec_b64 s[2:3], s[8:9]
	s_cbranch_execz .LBB56_2
; %bb.1:
	v_cmp_neq_f64_e32 vcc, 1.0, v[5:6]
	v_cmp_neq_f64_e64 s[0:1], 0, v[7:8]
	s_or_b64 s[0:1], vcc, s[0:1]
	s_orn2_b64 s[0:1], s[0:1], exec
.LBB56_2:
	s_or_b64 exec, exec, s[2:3]
	s_and_saveexec_b64 s[2:3], s[0:1]
	s_cbranch_execz .LBB56_37
; %bb.3:
	s_load_dwordx4 s[8:11], s[4:5], 0x20
	v_lshrrev_b32_e32 v23, 3, v0
	v_lshl_or_b32 v13, s6, 6, v23
	v_mov_b32_e32 v14, 0
	s_waitcnt lgkmcnt(0)
	v_cmp_gt_i64_e32 vcc, s[10:11], v[13:14]
	s_and_b64 exec, exec, vcc
	s_cbranch_execz .LBB56_37
; %bb.4:
	s_load_dwordx2 s[10:11], s[4:5], 0x10
	s_load_dwordx2 s[6:7], s[4:5], 0x78
	s_mov_b32 s0, 0
                                        ; implicit-def: $vgpr11_vgpr12
	s_waitcnt lgkmcnt(0)
	s_mov_b32 s1, s11
	s_cmp_lg_u64 s[0:1], 0
	s_cselect_b64 s[0:1], -1, 0
	s_and_saveexec_b64 s[2:3], s[0:1]
	s_xor_b64 s[14:15], exec, s[2:3]
	s_cbranch_execz .LBB56_6
; %bb.5:
	s_ashr_i32 s0, s11, 31
	s_add_u32 s2, s10, s0
	s_mov_b32 s1, s0
	s_addc_u32 s3, s11, s0
	s_xor_b64 s[18:19], s[2:3], s[0:1]
	v_cvt_f32_u32_e32 v9, s18
	v_cvt_f32_u32_e32 v10, s19
	s_sub_u32 s2, 0, s18
	s_subb_u32 s3, 0, s19
	v_add_co_u32_e32 v15, vcc, 0, v13
	v_madmk_f32 v9, v10, 0x4f800000, v9
	v_rcp_f32_e32 v9, v9
	v_mul_f32_e32 v9, 0x5f7ffffc, v9
	v_mul_f32_e32 v10, 0x2f800000, v9
	v_trunc_f32_e32 v10, v10
	v_madmk_f32 v9, v10, 0xcf800000, v9
	v_cvt_u32_f32_e32 v10, v10
	v_cvt_u32_f32_e32 v9, v9
	v_readfirstlane_b32 s11, v10
	v_readfirstlane_b32 s0, v9
	s_mul_i32 s1, s2, s11
	s_mul_hi_u32 s20, s2, s0
	s_mul_i32 s17, s3, s0
	s_add_i32 s1, s20, s1
	s_add_i32 s1, s1, s17
	s_mul_i32 s21, s2, s0
	s_mul_i32 s20, s0, s1
	s_mul_hi_u32 s22, s0, s21
	s_mul_hi_u32 s17, s0, s1
	s_add_u32 s20, s22, s20
	s_addc_u32 s17, 0, s17
	s_mul_hi_u32 s23, s11, s21
	s_mul_i32 s21, s11, s21
	s_add_u32 s20, s20, s21
	s_mul_hi_u32 s22, s11, s1
	s_addc_u32 s17, s17, s23
	s_addc_u32 s20, s22, 0
	s_mul_i32 s1, s11, s1
	s_add_u32 s1, s17, s1
	s_addc_u32 s17, 0, s20
	s_add_u32 s20, s0, s1
	s_cselect_b64 s[0:1], -1, 0
	s_cmp_lg_u64 s[0:1], 0
	s_addc_u32 s11, s11, s17
	s_mul_i32 s0, s2, s11
	s_mul_hi_u32 s1, s2, s20
	s_add_i32 s0, s1, s0
	s_mul_i32 s3, s3, s20
	s_add_i32 s0, s0, s3
	s_mul_i32 s2, s2, s20
	s_mul_hi_u32 s3, s11, s2
	s_mul_i32 s17, s11, s2
	s_mul_i32 s22, s20, s0
	s_mul_hi_u32 s2, s20, s2
	s_mul_hi_u32 s21, s20, s0
	s_add_u32 s2, s2, s22
	s_addc_u32 s21, 0, s21
	s_add_u32 s2, s2, s17
	s_mul_hi_u32 s1, s11, s0
	s_addc_u32 s2, s21, s3
	s_addc_u32 s1, s1, 0
	s_mul_i32 s0, s11, s0
	s_add_u32 s0, s2, s0
	s_addc_u32 s2, 0, s1
	s_add_u32 s3, s20, s0
	s_cselect_b64 s[0:1], -1, 0
	s_cmp_lg_u64 s[0:1], 0
	s_addc_u32 s2, s11, s2
	v_mad_u64_u32 v[9:10], s[0:1], v15, s2, 0
	v_mul_hi_u32 v11, v15, s3
	v_addc_co_u32_e64 v16, s[0:1], 0, 0, vcc
	v_add_co_u32_e32 v17, vcc, v11, v9
	v_addc_co_u32_e32 v18, vcc, 0, v10, vcc
	v_mad_u64_u32 v[9:10], s[0:1], v16, s3, 0
	v_mad_u64_u32 v[11:12], s[0:1], v16, s2, 0
	v_add_co_u32_e32 v9, vcc, v17, v9
	v_addc_co_u32_e32 v9, vcc, v18, v10, vcc
	v_addc_co_u32_e32 v10, vcc, 0, v12, vcc
	v_add_co_u32_e32 v9, vcc, v9, v11
	v_addc_co_u32_e32 v10, vcc, 0, v10, vcc
	v_mul_lo_u32 v11, s19, v9
	v_mul_lo_u32 v12, s18, v10
	v_mad_u64_u32 v[9:10], s[0:1], s18, v9, 0
	v_add3_u32 v10, v10, v12, v11
	v_sub_u32_e32 v11, v16, v10
	v_mov_b32_e32 v12, s19
	v_sub_co_u32_e32 v9, vcc, v15, v9
	v_subb_co_u32_e64 v11, s[0:1], v11, v12, vcc
	v_subrev_co_u32_e64 v15, s[0:1], s18, v9
	v_subbrev_co_u32_e64 v17, s[2:3], 0, v11, s[0:1]
	v_cmp_le_u32_e64 s[2:3], s19, v17
	v_cndmask_b32_e64 v18, 0, -1, s[2:3]
	v_cmp_le_u32_e64 s[2:3], s18, v15
	v_subb_co_u32_e64 v11, s[0:1], v11, v12, s[0:1]
	v_cndmask_b32_e64 v19, 0, -1, s[2:3]
	v_cmp_eq_u32_e64 s[2:3], s19, v17
	v_subrev_co_u32_e64 v12, s[0:1], s18, v15
	v_subb_co_u32_e32 v10, vcc, v16, v10, vcc
	v_cndmask_b32_e64 v18, v18, v19, s[2:3]
	v_subbrev_co_u32_e64 v11, s[0:1], 0, v11, s[0:1]
	v_cmp_le_u32_e32 vcc, s19, v10
	v_cmp_ne_u32_e64 s[0:1], 0, v18
	v_cndmask_b32_e64 v16, 0, -1, vcc
	v_cmp_le_u32_e32 vcc, s18, v9
	v_cndmask_b32_e64 v11, v17, v11, s[0:1]
	v_cndmask_b32_e64 v17, 0, -1, vcc
	v_cmp_eq_u32_e32 vcc, s19, v10
	v_cndmask_b32_e32 v16, v16, v17, vcc
	v_cmp_ne_u32_e32 vcc, 0, v16
	v_cndmask_b32_e32 v10, v10, v11, vcc
	v_cndmask_b32_e64 v11, v15, v12, s[0:1]
	v_cndmask_b32_e32 v9, v9, v11, vcc
	v_subrev_co_u32_e32 v11, vcc, 0, v9
	v_subbrev_co_u32_e32 v12, vcc, 0, v10, vcc
.LBB56_6:
	s_andn2_saveexec_b64 s[0:1], s[14:15]
	s_cbranch_execz .LBB56_8
; %bb.7:
	v_cvt_f32_u32_e32 v9, s10
	s_sub_i32 s2, 0, s10
	v_mov_b32_e32 v12, 0
	v_rcp_iflag_f32_e32 v9, v9
	v_mul_f32_e32 v9, 0x4f7ffffe, v9
	v_cvt_u32_f32_e32 v9, v9
	v_mul_lo_u32 v10, s2, v9
	v_mul_hi_u32 v10, v9, v10
	v_add_u32_e32 v9, v9, v10
	v_mul_hi_u32 v9, v13, v9
	v_mul_lo_u32 v9, v9, s10
	v_sub_u32_e32 v9, v13, v9
	v_subrev_u32_e32 v10, s10, v9
	v_cmp_le_u32_e32 vcc, s10, v9
	v_cndmask_b32_e32 v9, v9, v10, vcc
	v_subrev_u32_e32 v10, s10, v9
	v_cmp_le_u32_e32 vcc, s10, v9
	v_cndmask_b32_e32 v11, v9, v10, vcc
.LBB56_8:
	s_or_b64 exec, exec, s[0:1]
	v_lshlrev_b64 v[9:10], 3, v[13:14]
	v_mov_b32_e32 v15, s7
	v_add_co_u32_e32 v9, vcc, s6, v9
	v_addc_co_u32_e32 v10, vcc, v15, v10, vcc
	global_load_dwordx2 v[9:10], v[9:10], off
	s_mov_b64 s[18:19], -1
	s_waitcnt vmcnt(0)
	v_subrev_co_u32_e32 v9, vcc, s16, v9
	v_subbrev_co_u32_e32 v10, vcc, 0, v10, vcc
	v_cmp_lt_i64_e32 vcc, -1, v[9:10]
	s_and_b64 exec, exec, vcc
	s_cbranch_execz .LBB56_37
; %bb.9:
	s_load_dwordx4 s[0:3], s[4:5], 0x0
	s_load_dwordx2 s[10:11], s[4:5], 0x48
                                        ; implicit-def: $vgpr17_vgpr18
	s_waitcnt lgkmcnt(0)
	s_cmp_eq_u32 s2, 1
	s_cselect_b64 s[14:15], -1, 0
	s_cmpk_eq_i32 s0, 0x6f
	s_cselect_b64 s[16:17], -1, 0
	s_cmpk_lg_i32 s0, 0x6f
	s_cselect_b64 s[6:7], -1, 0
	s_cmp_lg_u32 s2, 1
	s_cbranch_scc0 .LBB56_13
; %bb.10:
	v_mov_b32_e32 v18, v12
	s_andn2_b64 vcc, exec, s[16:17]
	v_mov_b32_e32 v17, v11
	s_cbranch_vccnz .LBB56_12
; %bb.11:
	v_mul_lo_u32 v15, v12, s10
	v_mul_lo_u32 v16, v11, s11
	v_mad_u64_u32 v[17:18], s[18:19], v11, s10, 0
	v_add3_u32 v18, v18, v16, v15
.LBB56_12:
	s_mov_b64 s[18:19], 0
.LBB56_13:
	s_andn2_b64 vcc, exec, s[18:19]
	s_cbranch_vccnz .LBB56_17
; %bb.14:
	s_andn2_b64 vcc, exec, s[6:7]
	s_cbranch_vccnz .LBB56_16
; %bb.15:
	v_mul_lo_u32 v15, v12, s10
	v_mul_lo_u32 v16, v11, s11
	v_mad_u64_u32 v[11:12], s[6:7], v11, s10, 0
	v_add3_u32 v12, v12, v16, v15
.LBB56_16:
	v_mov_b32_e32 v18, v12
	v_mov_b32_e32 v17, v11
.LBB56_17:
	s_cmp_eq_u32 s3, 1
	s_cselect_b64 s[20:21], -1, 0
	s_cmpk_eq_i32 s1, 0x6f
	s_cselect_b64 s[22:23], -1, 0
	s_cmpk_lg_i32 s1, 0x6f
	s_cselect_b64 s[0:1], -1, 0
	s_cmp_lg_u32 s3, 1
	s_cbranch_scc0 .LBB56_21
; %bb.18:
	v_mov_b32_e32 v20, v10
	s_andn2_b64 vcc, exec, s[0:1]
	v_mov_b32_e32 v19, v9
	s_cbranch_vccnz .LBB56_20
; %bb.19:
	v_mul_lo_u32 v11, v10, s12
	v_mul_lo_u32 v12, v9, s13
	v_mad_u64_u32 v[19:20], s[0:1], v9, s12, 0
	v_add3_u32 v20, v20, v12, v11
.LBB56_20:
	s_cbranch_execz .LBB56_22
	s_branch .LBB56_25
.LBB56_21:
                                        ; implicit-def: $vgpr19_vgpr20
.LBB56_22:
	s_andn2_b64 vcc, exec, s[22:23]
	s_cbranch_vccnz .LBB56_24
; %bb.23:
	v_mul_lo_u32 v11, v10, s12
	v_mul_lo_u32 v12, v9, s13
	v_mad_u64_u32 v[9:10], s[0:1], v9, s12, 0
	v_add3_u32 v10, v10, v12, v11
.LBB56_24:
	v_mov_b32_e32 v20, v10
	v_mov_b32_e32 v19, v9
.LBB56_25:
	s_load_dwordx2 s[6:7], s[4:5], 0x70
	v_and_b32_e32 v15, 7, v0
	v_mov_b32_e32 v16, 0
	v_cmp_gt_i64_e32 vcc, s[8:9], v[15:16]
	v_mov_b32_e32 v11, 0
	v_mov_b32_e32 v9, 0
	;; [unrolled: 1-line block ×4, first 2 shown]
	s_and_saveexec_b64 s[18:19], vcc
	s_cbranch_execz .LBB56_29
; %bb.26:
	s_xor_b64 s[0:1], s[16:17], s[14:15]
	s_and_b64 s[0:1], s[0:1], exec
	s_cselect_b32 s0, 1, s10
	v_mad_u64_u32 v[9:10], s[2:3], s0, v15, 0
	s_cselect_b32 s1, 0, s11
	s_load_dwordx2 s[2:3], s[4:5], 0x40
	s_load_dwordx2 s[14:15], s[4:5], 0x50
	v_mov_b32_e32 v0, v10
	v_mad_u64_u32 v[10:11], s[10:11], s1, v15, v[0:1]
	s_xor_b64 s[4:5], s[22:23], s[20:21]
	v_lshlrev_b64 v[11:12], 4, v[17:18]
	v_lshlrev_b64 v[9:10], 4, v[9:10]
	s_and_b64 s[4:5], s[4:5], exec
	s_cselect_b32 s10, s12, 1
	v_add_co_u32_e32 v0, vcc, v9, v11
	v_addc_co_u32_e32 v11, vcc, v10, v12, vcc
	v_mad_u64_u32 v[9:10], s[4:5], s10, v15, 0
	s_cselect_b32 s11, s13, 0
	s_waitcnt lgkmcnt(0)
	v_mov_b32_e32 v12, s3
	v_add_co_u32_e32 v17, vcc, s2, v0
	v_mov_b32_e32 v0, v10
	v_addc_co_u32_e32 v12, vcc, v12, v11, vcc
	v_mad_u64_u32 v[10:11], s[2:3], s11, v15, v[0:1]
	v_add_co_u32_e32 v17, vcc, 8, v17
	v_addc_co_u32_e32 v18, vcc, 0, v12, vcc
	v_lshlrev_b64 v[9:10], 4, v[9:10]
	v_lshlrev_b64 v[11:12], 4, v[19:20]
	s_lshl_b64 s[4:5], s[0:1], 7
	v_add_co_u32_e32 v0, vcc, v9, v11
	v_addc_co_u32_e32 v9, vcc, v10, v12, vcc
	v_mov_b32_e32 v10, s15
	v_add_co_u32_e32 v0, vcc, s14, v0
	v_addc_co_u32_e32 v9, vcc, v10, v9, vcc
	v_add_co_u32_e32 v19, vcc, 8, v0
	v_mov_b32_e32 v11, 0
	v_addc_co_u32_e32 v20, vcc, 0, v9, vcc
	s_lshl_b64 s[10:11], s[10:11], 7
	v_mov_b32_e32 v12, 0
	v_mov_b32_e32 v22, v16
	;; [unrolled: 1-line block ×3, first 2 shown]
	s_mov_b64 s[12:13], 0
	v_mov_b32_e32 v0, s5
	v_mov_b32_e32 v24, s11
	;; [unrolled: 1-line block ×4, first 2 shown]
.LBB56_27:                              ; =>This Inner Loop Header: Depth=1
	global_load_dwordx4 v[25:28], v[19:20], off offset:-8
	global_load_dwordx4 v[29:32], v[17:18], off offset:-8
	v_add_co_u32_e32 v17, vcc, s4, v17
	v_add_co_u32_e64 v21, s[2:3], 8, v21
	v_addc_co_u32_e64 v22, s[2:3], 0, v22, s[2:3]
	v_addc_co_u32_e32 v18, vcc, v18, v0, vcc
	v_cmp_le_i64_e32 vcc, s[8:9], v[21:22]
	v_add_co_u32_e64 v19, s[0:1], s10, v19
	s_or_b64 s[12:13], vcc, s[12:13]
	v_addc_co_u32_e64 v20, vcc, v20, v24, s[0:1]
	s_waitcnt vmcnt(0)
	v_mul_f64 v[33:34], v[27:28], -v[31:32]
	v_mul_f64 v[27:28], v[27:28], v[29:30]
	v_fma_f64 v[29:30], v[29:30], v[25:26], v[33:34]
	v_fma_f64 v[25:26], v[31:32], v[25:26], v[27:28]
	v_add_f64 v[9:10], v[9:10], v[29:30]
	v_add_f64 v[11:12], v[11:12], v[25:26]
	s_andn2_b64 exec, exec, s[12:13]
	s_cbranch_execnz .LBB56_27
; %bb.28:
	s_or_b64 exec, exec, s[12:13]
.LBB56_29:
	s_or_b64 exec, exec, s[18:19]
	v_lshlrev_b32_e32 v0, 7, v23
	v_lshl_or_b32 v16, v15, 4, v0
	v_cmp_gt_u32_e32 vcc, 4, v15
	ds_write_b128 v16, v[9:12]
	s_waitcnt lgkmcnt(0)
	s_barrier
	s_and_saveexec_b64 s[0:1], vcc
	s_cbranch_execz .LBB56_31
; %bb.30:
	ds_read_b128 v[9:12], v16 offset:64
	ds_read_b128 v[17:20], v16
	s_waitcnt lgkmcnt(0)
	v_add_f64 v[9:10], v[9:10], v[17:18]
	v_add_f64 v[11:12], v[11:12], v[19:20]
	ds_write_b128 v16, v[9:12]
.LBB56_31:
	s_or_b64 exec, exec, s[0:1]
	v_cmp_gt_u32_e32 vcc, 2, v15
	s_waitcnt lgkmcnt(0)
	s_barrier
	s_and_saveexec_b64 s[0:1], vcc
	s_cbranch_execz .LBB56_33
; %bb.32:
	ds_read_b128 v[9:12], v16
	ds_read_b128 v[17:20], v16 offset:32
	s_waitcnt lgkmcnt(0)
	v_add_f64 v[9:10], v[17:18], v[9:10]
	v_add_f64 v[11:12], v[19:20], v[11:12]
	ds_write_b128 v16, v[9:12]
.LBB56_33:
	s_or_b64 exec, exec, s[0:1]
	v_cmp_eq_u32_e32 vcc, 0, v15
	s_waitcnt lgkmcnt(0)
	s_barrier
	s_and_saveexec_b64 s[0:1], vcc
	s_cbranch_execz .LBB56_35
; %bb.34:
	ds_read_b128 v[9:12], v16
	ds_read_b128 v[17:20], v16 offset:16
	s_waitcnt lgkmcnt(0)
	v_add_f64 v[9:10], v[17:18], v[9:10]
	v_add_f64 v[11:12], v[19:20], v[11:12]
	ds_write_b128 v16, v[9:12]
.LBB56_35:
	s_or_b64 exec, exec, s[0:1]
	s_waitcnt lgkmcnt(0)
	s_barrier
	s_and_b64 exec, exec, vcc
	s_cbranch_execz .LBB56_37
; %bb.36:
	v_lshlrev_b64 v[9:10], 4, v[13:14]
	v_mov_b32_e32 v11, s7
	v_add_co_u32_e32 v17, vcc, s6, v9
	v_addc_co_u32_e32 v18, vcc, v11, v10, vcc
	global_load_dwordx4 v[9:12], v[17:18], off
	ds_read_b128 v[13:16], v0
	s_waitcnt lgkmcnt(0)
	v_mul_f64 v[19:20], v[15:16], -v[3:4]
	v_mul_f64 v[15:16], v[1:2], v[15:16]
	v_fma_f64 v[0:1], v[1:2], v[13:14], v[19:20]
	v_fma_f64 v[2:3], v[3:4], v[13:14], v[15:16]
	s_waitcnt vmcnt(0)
	v_mul_f64 v[21:22], v[7:8], -v[11:12]
	v_mul_f64 v[7:8], v[7:8], v[9:10]
	v_fma_f64 v[9:10], v[9:10], v[5:6], v[21:22]
	v_fma_f64 v[4:5], v[11:12], v[5:6], v[7:8]
	v_add_f64 v[0:1], v[9:10], v[0:1]
	v_add_f64 v[2:3], v[4:5], v[2:3]
	global_store_dwordx4 v[17:18], v[0:3], off
.LBB56_37:
	s_endpgm
	.section	.rodata,"a",@progbits
	.p2align	6, 0x0
	.amdhsa_kernel _ZN9rocsparseL16sddmm_ell_kernelILi512ELi8E21rocsparse_complex_numIdEllS2_S2_S2_EEv20rocsparse_operation_S3_16rocsparse_order_S4_T3_S5_S5_T2_NS_24const_host_device_scalarIT1_EEPKT4_lPKT5_lS9_PT6_PKS5_21rocsparse_index_base_b
		.amdhsa_group_segment_fixed_size 8192
		.amdhsa_private_segment_fixed_size 0
		.amdhsa_kernarg_size 136
		.amdhsa_user_sgpr_count 6
		.amdhsa_user_sgpr_private_segment_buffer 1
		.amdhsa_user_sgpr_dispatch_ptr 0
		.amdhsa_user_sgpr_queue_ptr 0
		.amdhsa_user_sgpr_kernarg_segment_ptr 1
		.amdhsa_user_sgpr_dispatch_id 0
		.amdhsa_user_sgpr_flat_scratch_init 0
		.amdhsa_user_sgpr_private_segment_size 0
		.amdhsa_uses_dynamic_stack 0
		.amdhsa_system_sgpr_private_segment_wavefront_offset 0
		.amdhsa_system_sgpr_workgroup_id_x 1
		.amdhsa_system_sgpr_workgroup_id_y 0
		.amdhsa_system_sgpr_workgroup_id_z 0
		.amdhsa_system_sgpr_workgroup_info 0
		.amdhsa_system_vgpr_workitem_id 0
		.amdhsa_next_free_vgpr 35
		.amdhsa_next_free_sgpr 24
		.amdhsa_reserve_vcc 1
		.amdhsa_reserve_flat_scratch 0
		.amdhsa_float_round_mode_32 0
		.amdhsa_float_round_mode_16_64 0
		.amdhsa_float_denorm_mode_32 3
		.amdhsa_float_denorm_mode_16_64 3
		.amdhsa_dx10_clamp 1
		.amdhsa_ieee_mode 1
		.amdhsa_fp16_overflow 0
		.amdhsa_exception_fp_ieee_invalid_op 0
		.amdhsa_exception_fp_denorm_src 0
		.amdhsa_exception_fp_ieee_div_zero 0
		.amdhsa_exception_fp_ieee_overflow 0
		.amdhsa_exception_fp_ieee_underflow 0
		.amdhsa_exception_fp_ieee_inexact 0
		.amdhsa_exception_int_div_zero 0
	.end_amdhsa_kernel
	.section	.text._ZN9rocsparseL16sddmm_ell_kernelILi512ELi8E21rocsparse_complex_numIdEllS2_S2_S2_EEv20rocsparse_operation_S3_16rocsparse_order_S4_T3_S5_S5_T2_NS_24const_host_device_scalarIT1_EEPKT4_lPKT5_lS9_PT6_PKS5_21rocsparse_index_base_b,"axG",@progbits,_ZN9rocsparseL16sddmm_ell_kernelILi512ELi8E21rocsparse_complex_numIdEllS2_S2_S2_EEv20rocsparse_operation_S3_16rocsparse_order_S4_T3_S5_S5_T2_NS_24const_host_device_scalarIT1_EEPKT4_lPKT5_lS9_PT6_PKS5_21rocsparse_index_base_b,comdat
.Lfunc_end56:
	.size	_ZN9rocsparseL16sddmm_ell_kernelILi512ELi8E21rocsparse_complex_numIdEllS2_S2_S2_EEv20rocsparse_operation_S3_16rocsparse_order_S4_T3_S5_S5_T2_NS_24const_host_device_scalarIT1_EEPKT4_lPKT5_lS9_PT6_PKS5_21rocsparse_index_base_b, .Lfunc_end56-_ZN9rocsparseL16sddmm_ell_kernelILi512ELi8E21rocsparse_complex_numIdEllS2_S2_S2_EEv20rocsparse_operation_S3_16rocsparse_order_S4_T3_S5_S5_T2_NS_24const_host_device_scalarIT1_EEPKT4_lPKT5_lS9_PT6_PKS5_21rocsparse_index_base_b
                                        ; -- End function
	.set _ZN9rocsparseL16sddmm_ell_kernelILi512ELi8E21rocsparse_complex_numIdEllS2_S2_S2_EEv20rocsparse_operation_S3_16rocsparse_order_S4_T3_S5_S5_T2_NS_24const_host_device_scalarIT1_EEPKT4_lPKT5_lS9_PT6_PKS5_21rocsparse_index_base_b.num_vgpr, 35
	.set _ZN9rocsparseL16sddmm_ell_kernelILi512ELi8E21rocsparse_complex_numIdEllS2_S2_S2_EEv20rocsparse_operation_S3_16rocsparse_order_S4_T3_S5_S5_T2_NS_24const_host_device_scalarIT1_EEPKT4_lPKT5_lS9_PT6_PKS5_21rocsparse_index_base_b.num_agpr, 0
	.set _ZN9rocsparseL16sddmm_ell_kernelILi512ELi8E21rocsparse_complex_numIdEllS2_S2_S2_EEv20rocsparse_operation_S3_16rocsparse_order_S4_T3_S5_S5_T2_NS_24const_host_device_scalarIT1_EEPKT4_lPKT5_lS9_PT6_PKS5_21rocsparse_index_base_b.numbered_sgpr, 24
	.set _ZN9rocsparseL16sddmm_ell_kernelILi512ELi8E21rocsparse_complex_numIdEllS2_S2_S2_EEv20rocsparse_operation_S3_16rocsparse_order_S4_T3_S5_S5_T2_NS_24const_host_device_scalarIT1_EEPKT4_lPKT5_lS9_PT6_PKS5_21rocsparse_index_base_b.num_named_barrier, 0
	.set _ZN9rocsparseL16sddmm_ell_kernelILi512ELi8E21rocsparse_complex_numIdEllS2_S2_S2_EEv20rocsparse_operation_S3_16rocsparse_order_S4_T3_S5_S5_T2_NS_24const_host_device_scalarIT1_EEPKT4_lPKT5_lS9_PT6_PKS5_21rocsparse_index_base_b.private_seg_size, 0
	.set _ZN9rocsparseL16sddmm_ell_kernelILi512ELi8E21rocsparse_complex_numIdEllS2_S2_S2_EEv20rocsparse_operation_S3_16rocsparse_order_S4_T3_S5_S5_T2_NS_24const_host_device_scalarIT1_EEPKT4_lPKT5_lS9_PT6_PKS5_21rocsparse_index_base_b.uses_vcc, 1
	.set _ZN9rocsparseL16sddmm_ell_kernelILi512ELi8E21rocsparse_complex_numIdEllS2_S2_S2_EEv20rocsparse_operation_S3_16rocsparse_order_S4_T3_S5_S5_T2_NS_24const_host_device_scalarIT1_EEPKT4_lPKT5_lS9_PT6_PKS5_21rocsparse_index_base_b.uses_flat_scratch, 0
	.set _ZN9rocsparseL16sddmm_ell_kernelILi512ELi8E21rocsparse_complex_numIdEllS2_S2_S2_EEv20rocsparse_operation_S3_16rocsparse_order_S4_T3_S5_S5_T2_NS_24const_host_device_scalarIT1_EEPKT4_lPKT5_lS9_PT6_PKS5_21rocsparse_index_base_b.has_dyn_sized_stack, 0
	.set _ZN9rocsparseL16sddmm_ell_kernelILi512ELi8E21rocsparse_complex_numIdEllS2_S2_S2_EEv20rocsparse_operation_S3_16rocsparse_order_S4_T3_S5_S5_T2_NS_24const_host_device_scalarIT1_EEPKT4_lPKT5_lS9_PT6_PKS5_21rocsparse_index_base_b.has_recursion, 0
	.set _ZN9rocsparseL16sddmm_ell_kernelILi512ELi8E21rocsparse_complex_numIdEllS2_S2_S2_EEv20rocsparse_operation_S3_16rocsparse_order_S4_T3_S5_S5_T2_NS_24const_host_device_scalarIT1_EEPKT4_lPKT5_lS9_PT6_PKS5_21rocsparse_index_base_b.has_indirect_call, 0
	.section	.AMDGPU.csdata,"",@progbits
; Kernel info:
; codeLenInByte = 2068
; TotalNumSgprs: 28
; NumVgprs: 35
; ScratchSize: 0
; MemoryBound: 0
; FloatMode: 240
; IeeeMode: 1
; LDSByteSize: 8192 bytes/workgroup (compile time only)
; SGPRBlocks: 3
; VGPRBlocks: 8
; NumSGPRsForWavesPerEU: 28
; NumVGPRsForWavesPerEU: 35
; Occupancy: 7
; WaveLimiterHint : 1
; COMPUTE_PGM_RSRC2:SCRATCH_EN: 0
; COMPUTE_PGM_RSRC2:USER_SGPR: 6
; COMPUTE_PGM_RSRC2:TRAP_HANDLER: 0
; COMPUTE_PGM_RSRC2:TGID_X_EN: 1
; COMPUTE_PGM_RSRC2:TGID_Y_EN: 0
; COMPUTE_PGM_RSRC2:TGID_Z_EN: 0
; COMPUTE_PGM_RSRC2:TIDIG_COMP_CNT: 0
	.section	.text._ZN9rocsparseL16sddmm_ell_kernelILi512ELi4E21rocsparse_complex_numIdEllS2_S2_S2_EEv20rocsparse_operation_S3_16rocsparse_order_S4_T3_S5_S5_T2_NS_24const_host_device_scalarIT1_EEPKT4_lPKT5_lS9_PT6_PKS5_21rocsparse_index_base_b,"axG",@progbits,_ZN9rocsparseL16sddmm_ell_kernelILi512ELi4E21rocsparse_complex_numIdEllS2_S2_S2_EEv20rocsparse_operation_S3_16rocsparse_order_S4_T3_S5_S5_T2_NS_24const_host_device_scalarIT1_EEPKT4_lPKT5_lS9_PT6_PKS5_21rocsparse_index_base_b,comdat
	.globl	_ZN9rocsparseL16sddmm_ell_kernelILi512ELi4E21rocsparse_complex_numIdEllS2_S2_S2_EEv20rocsparse_operation_S3_16rocsparse_order_S4_T3_S5_S5_T2_NS_24const_host_device_scalarIT1_EEPKT4_lPKT5_lS9_PT6_PKS5_21rocsparse_index_base_b ; -- Begin function _ZN9rocsparseL16sddmm_ell_kernelILi512ELi4E21rocsparse_complex_numIdEllS2_S2_S2_EEv20rocsparse_operation_S3_16rocsparse_order_S4_T3_S5_S5_T2_NS_24const_host_device_scalarIT1_EEPKT4_lPKT5_lS9_PT6_PKS5_21rocsparse_index_base_b
	.p2align	8
	.type	_ZN9rocsparseL16sddmm_ell_kernelILi512ELi4E21rocsparse_complex_numIdEllS2_S2_S2_EEv20rocsparse_operation_S3_16rocsparse_order_S4_T3_S5_S5_T2_NS_24const_host_device_scalarIT1_EEPKT4_lPKT5_lS9_PT6_PKS5_21rocsparse_index_base_b,@function
_ZN9rocsparseL16sddmm_ell_kernelILi512ELi4E21rocsparse_complex_numIdEllS2_S2_S2_EEv20rocsparse_operation_S3_16rocsparse_order_S4_T3_S5_S5_T2_NS_24const_host_device_scalarIT1_EEPKT4_lPKT5_lS9_PT6_PKS5_21rocsparse_index_base_b: ; @_ZN9rocsparseL16sddmm_ell_kernelILi512ELi4E21rocsparse_complex_numIdEllS2_S2_S2_EEv20rocsparse_operation_S3_16rocsparse_order_S4_T3_S5_S5_T2_NS_24const_host_device_scalarIT1_EEPKT4_lPKT5_lS9_PT6_PKS5_21rocsparse_index_base_b
; %bb.0:
	s_load_dwordx2 s[0:1], s[4:5], 0x30
	s_load_dwordx4 s[12:15], s[4:5], 0x58
	s_load_dwordx2 s[16:17], s[4:5], 0x80
	s_add_u32 s2, s4, 48
	s_addc_u32 s3, s5, 0
	s_add_u32 s7, s4, 0x60
	s_addc_u32 s8, s5, 0
	s_waitcnt lgkmcnt(0)
	s_bitcmp1_b32 s17, 0
	s_cselect_b32 s1, s3, s1
	s_cselect_b32 s0, s2, s0
	v_mov_b32_e32 v1, s0
	v_mov_b32_e32 v2, s1
	flat_load_dwordx4 v[1:4], v[1:2]
	s_cselect_b32 s0, s8, s15
	s_cselect_b32 s1, s7, s14
	v_mov_b32_e32 v5, s1
	v_mov_b32_e32 v6, s0
	flat_load_dwordx4 v[5:8], v[5:6]
	s_waitcnt vmcnt(0) lgkmcnt(0)
	v_cmp_eq_f64_e32 vcc, 0, v[1:2]
	v_cmp_eq_f64_e64 s[0:1], 0, v[3:4]
	s_and_b64 s[8:9], vcc, s[0:1]
	s_mov_b64 s[0:1], -1
	s_and_saveexec_b64 s[2:3], s[8:9]
	s_cbranch_execz .LBB57_2
; %bb.1:
	v_cmp_neq_f64_e32 vcc, 1.0, v[5:6]
	v_cmp_neq_f64_e64 s[0:1], 0, v[7:8]
	s_or_b64 s[0:1], vcc, s[0:1]
	s_orn2_b64 s[0:1], s[0:1], exec
.LBB57_2:
	s_or_b64 exec, exec, s[2:3]
	s_and_saveexec_b64 s[2:3], s[0:1]
	s_cbranch_execz .LBB57_35
; %bb.3:
	s_load_dwordx4 s[8:11], s[4:5], 0x20
	v_lshrrev_b32_e32 v23, 2, v0
	v_lshl_or_b32 v13, s6, 7, v23
	v_mov_b32_e32 v14, 0
	s_waitcnt lgkmcnt(0)
	v_cmp_gt_i64_e32 vcc, s[10:11], v[13:14]
	s_and_b64 exec, exec, vcc
	s_cbranch_execz .LBB57_35
; %bb.4:
	s_load_dwordx2 s[10:11], s[4:5], 0x10
	s_load_dwordx2 s[6:7], s[4:5], 0x78
	s_mov_b32 s0, 0
                                        ; implicit-def: $vgpr11_vgpr12
	s_waitcnt lgkmcnt(0)
	s_mov_b32 s1, s11
	s_cmp_lg_u64 s[0:1], 0
	s_cselect_b64 s[0:1], -1, 0
	s_and_saveexec_b64 s[2:3], s[0:1]
	s_xor_b64 s[14:15], exec, s[2:3]
	s_cbranch_execz .LBB57_6
; %bb.5:
	s_ashr_i32 s0, s11, 31
	s_add_u32 s2, s10, s0
	s_mov_b32 s1, s0
	s_addc_u32 s3, s11, s0
	s_xor_b64 s[18:19], s[2:3], s[0:1]
	v_cvt_f32_u32_e32 v9, s18
	v_cvt_f32_u32_e32 v10, s19
	s_sub_u32 s2, 0, s18
	s_subb_u32 s3, 0, s19
	v_add_co_u32_e32 v15, vcc, 0, v13
	v_madmk_f32 v9, v10, 0x4f800000, v9
	v_rcp_f32_e32 v9, v9
	v_mul_f32_e32 v9, 0x5f7ffffc, v9
	v_mul_f32_e32 v10, 0x2f800000, v9
	v_trunc_f32_e32 v10, v10
	v_madmk_f32 v9, v10, 0xcf800000, v9
	v_cvt_u32_f32_e32 v10, v10
	v_cvt_u32_f32_e32 v9, v9
	v_readfirstlane_b32 s11, v10
	v_readfirstlane_b32 s0, v9
	s_mul_i32 s1, s2, s11
	s_mul_hi_u32 s20, s2, s0
	s_mul_i32 s17, s3, s0
	s_add_i32 s1, s20, s1
	s_add_i32 s1, s1, s17
	s_mul_i32 s21, s2, s0
	s_mul_i32 s20, s0, s1
	s_mul_hi_u32 s22, s0, s21
	s_mul_hi_u32 s17, s0, s1
	s_add_u32 s20, s22, s20
	s_addc_u32 s17, 0, s17
	s_mul_hi_u32 s23, s11, s21
	s_mul_i32 s21, s11, s21
	s_add_u32 s20, s20, s21
	s_mul_hi_u32 s22, s11, s1
	s_addc_u32 s17, s17, s23
	s_addc_u32 s20, s22, 0
	s_mul_i32 s1, s11, s1
	s_add_u32 s1, s17, s1
	s_addc_u32 s17, 0, s20
	s_add_u32 s20, s0, s1
	s_cselect_b64 s[0:1], -1, 0
	s_cmp_lg_u64 s[0:1], 0
	s_addc_u32 s11, s11, s17
	s_mul_i32 s0, s2, s11
	s_mul_hi_u32 s1, s2, s20
	s_add_i32 s0, s1, s0
	s_mul_i32 s3, s3, s20
	s_add_i32 s0, s0, s3
	s_mul_i32 s2, s2, s20
	s_mul_hi_u32 s3, s11, s2
	s_mul_i32 s17, s11, s2
	s_mul_i32 s22, s20, s0
	s_mul_hi_u32 s2, s20, s2
	s_mul_hi_u32 s21, s20, s0
	s_add_u32 s2, s2, s22
	s_addc_u32 s21, 0, s21
	s_add_u32 s2, s2, s17
	s_mul_hi_u32 s1, s11, s0
	s_addc_u32 s2, s21, s3
	s_addc_u32 s1, s1, 0
	s_mul_i32 s0, s11, s0
	s_add_u32 s0, s2, s0
	s_addc_u32 s2, 0, s1
	s_add_u32 s3, s20, s0
	s_cselect_b64 s[0:1], -1, 0
	s_cmp_lg_u64 s[0:1], 0
	s_addc_u32 s2, s11, s2
	v_mad_u64_u32 v[9:10], s[0:1], v15, s2, 0
	v_mul_hi_u32 v11, v15, s3
	v_addc_co_u32_e64 v16, s[0:1], 0, 0, vcc
	v_add_co_u32_e32 v17, vcc, v11, v9
	v_addc_co_u32_e32 v18, vcc, 0, v10, vcc
	v_mad_u64_u32 v[9:10], s[0:1], v16, s3, 0
	v_mad_u64_u32 v[11:12], s[0:1], v16, s2, 0
	v_add_co_u32_e32 v9, vcc, v17, v9
	v_addc_co_u32_e32 v9, vcc, v18, v10, vcc
	v_addc_co_u32_e32 v10, vcc, 0, v12, vcc
	v_add_co_u32_e32 v9, vcc, v9, v11
	v_addc_co_u32_e32 v10, vcc, 0, v10, vcc
	v_mul_lo_u32 v11, s19, v9
	v_mul_lo_u32 v12, s18, v10
	v_mad_u64_u32 v[9:10], s[0:1], s18, v9, 0
	v_add3_u32 v10, v10, v12, v11
	v_sub_u32_e32 v11, v16, v10
	v_mov_b32_e32 v12, s19
	v_sub_co_u32_e32 v9, vcc, v15, v9
	v_subb_co_u32_e64 v11, s[0:1], v11, v12, vcc
	v_subrev_co_u32_e64 v15, s[0:1], s18, v9
	v_subbrev_co_u32_e64 v17, s[2:3], 0, v11, s[0:1]
	v_cmp_le_u32_e64 s[2:3], s19, v17
	v_cndmask_b32_e64 v18, 0, -1, s[2:3]
	v_cmp_le_u32_e64 s[2:3], s18, v15
	v_subb_co_u32_e64 v11, s[0:1], v11, v12, s[0:1]
	v_cndmask_b32_e64 v19, 0, -1, s[2:3]
	v_cmp_eq_u32_e64 s[2:3], s19, v17
	v_subrev_co_u32_e64 v12, s[0:1], s18, v15
	v_subb_co_u32_e32 v10, vcc, v16, v10, vcc
	v_cndmask_b32_e64 v18, v18, v19, s[2:3]
	v_subbrev_co_u32_e64 v11, s[0:1], 0, v11, s[0:1]
	v_cmp_le_u32_e32 vcc, s19, v10
	v_cmp_ne_u32_e64 s[0:1], 0, v18
	v_cndmask_b32_e64 v16, 0, -1, vcc
	v_cmp_le_u32_e32 vcc, s18, v9
	v_cndmask_b32_e64 v11, v17, v11, s[0:1]
	v_cndmask_b32_e64 v17, 0, -1, vcc
	v_cmp_eq_u32_e32 vcc, s19, v10
	v_cndmask_b32_e32 v16, v16, v17, vcc
	v_cmp_ne_u32_e32 vcc, 0, v16
	v_cndmask_b32_e32 v10, v10, v11, vcc
	v_cndmask_b32_e64 v11, v15, v12, s[0:1]
	v_cndmask_b32_e32 v9, v9, v11, vcc
	v_subrev_co_u32_e32 v11, vcc, 0, v9
	v_subbrev_co_u32_e32 v12, vcc, 0, v10, vcc
.LBB57_6:
	s_andn2_saveexec_b64 s[0:1], s[14:15]
	s_cbranch_execz .LBB57_8
; %bb.7:
	v_cvt_f32_u32_e32 v9, s10
	s_sub_i32 s2, 0, s10
	v_mov_b32_e32 v12, 0
	v_rcp_iflag_f32_e32 v9, v9
	v_mul_f32_e32 v9, 0x4f7ffffe, v9
	v_cvt_u32_f32_e32 v9, v9
	v_mul_lo_u32 v10, s2, v9
	v_mul_hi_u32 v10, v9, v10
	v_add_u32_e32 v9, v9, v10
	v_mul_hi_u32 v9, v13, v9
	v_mul_lo_u32 v9, v9, s10
	v_sub_u32_e32 v9, v13, v9
	v_subrev_u32_e32 v10, s10, v9
	v_cmp_le_u32_e32 vcc, s10, v9
	v_cndmask_b32_e32 v9, v9, v10, vcc
	v_subrev_u32_e32 v10, s10, v9
	v_cmp_le_u32_e32 vcc, s10, v9
	v_cndmask_b32_e32 v11, v9, v10, vcc
.LBB57_8:
	s_or_b64 exec, exec, s[0:1]
	v_lshlrev_b64 v[9:10], 3, v[13:14]
	v_mov_b32_e32 v15, s7
	v_add_co_u32_e32 v9, vcc, s6, v9
	v_addc_co_u32_e32 v10, vcc, v15, v10, vcc
	global_load_dwordx2 v[9:10], v[9:10], off
	s_mov_b64 s[18:19], -1
	s_waitcnt vmcnt(0)
	v_subrev_co_u32_e32 v9, vcc, s16, v9
	v_subbrev_co_u32_e32 v10, vcc, 0, v10, vcc
	v_cmp_lt_i64_e32 vcc, -1, v[9:10]
	s_and_b64 exec, exec, vcc
	s_cbranch_execz .LBB57_35
; %bb.9:
	s_load_dwordx4 s[0:3], s[4:5], 0x0
	s_load_dwordx2 s[10:11], s[4:5], 0x48
                                        ; implicit-def: $vgpr17_vgpr18
	s_waitcnt lgkmcnt(0)
	s_cmp_eq_u32 s2, 1
	s_cselect_b64 s[14:15], -1, 0
	s_cmpk_eq_i32 s0, 0x6f
	s_cselect_b64 s[16:17], -1, 0
	s_cmpk_lg_i32 s0, 0x6f
	s_cselect_b64 s[6:7], -1, 0
	s_cmp_lg_u32 s2, 1
	s_cbranch_scc0 .LBB57_13
; %bb.10:
	v_mov_b32_e32 v18, v12
	s_andn2_b64 vcc, exec, s[16:17]
	v_mov_b32_e32 v17, v11
	s_cbranch_vccnz .LBB57_12
; %bb.11:
	v_mul_lo_u32 v15, v12, s10
	v_mul_lo_u32 v16, v11, s11
	v_mad_u64_u32 v[17:18], s[18:19], v11, s10, 0
	v_add3_u32 v18, v18, v16, v15
.LBB57_12:
	s_mov_b64 s[18:19], 0
.LBB57_13:
	s_andn2_b64 vcc, exec, s[18:19]
	s_cbranch_vccnz .LBB57_17
; %bb.14:
	s_andn2_b64 vcc, exec, s[6:7]
	s_cbranch_vccnz .LBB57_16
; %bb.15:
	v_mul_lo_u32 v15, v12, s10
	v_mul_lo_u32 v16, v11, s11
	v_mad_u64_u32 v[11:12], s[6:7], v11, s10, 0
	v_add3_u32 v12, v12, v16, v15
.LBB57_16:
	v_mov_b32_e32 v18, v12
	v_mov_b32_e32 v17, v11
.LBB57_17:
	s_cmp_eq_u32 s3, 1
	s_cselect_b64 s[20:21], -1, 0
	s_cmpk_eq_i32 s1, 0x6f
	s_cselect_b64 s[22:23], -1, 0
	s_cmpk_lg_i32 s1, 0x6f
	s_cselect_b64 s[0:1], -1, 0
	s_cmp_lg_u32 s3, 1
	s_cbranch_scc0 .LBB57_21
; %bb.18:
	v_mov_b32_e32 v20, v10
	s_andn2_b64 vcc, exec, s[0:1]
	v_mov_b32_e32 v19, v9
	s_cbranch_vccnz .LBB57_20
; %bb.19:
	v_mul_lo_u32 v11, v10, s12
	v_mul_lo_u32 v12, v9, s13
	v_mad_u64_u32 v[19:20], s[0:1], v9, s12, 0
	v_add3_u32 v20, v20, v12, v11
.LBB57_20:
	s_cbranch_execz .LBB57_22
	s_branch .LBB57_25
.LBB57_21:
                                        ; implicit-def: $vgpr19_vgpr20
.LBB57_22:
	s_andn2_b64 vcc, exec, s[22:23]
	s_cbranch_vccnz .LBB57_24
; %bb.23:
	v_mul_lo_u32 v11, v10, s12
	v_mul_lo_u32 v12, v9, s13
	v_mad_u64_u32 v[9:10], s[0:1], v9, s12, 0
	v_add3_u32 v10, v10, v12, v11
.LBB57_24:
	v_mov_b32_e32 v20, v10
	v_mov_b32_e32 v19, v9
.LBB57_25:
	s_load_dwordx2 s[6:7], s[4:5], 0x70
	v_and_b32_e32 v15, 3, v0
	v_mov_b32_e32 v16, 0
	v_cmp_gt_i64_e32 vcc, s[8:9], v[15:16]
	v_mov_b32_e32 v11, 0
	v_mov_b32_e32 v9, 0
	;; [unrolled: 1-line block ×4, first 2 shown]
	s_and_saveexec_b64 s[18:19], vcc
	s_cbranch_execz .LBB57_29
; %bb.26:
	s_xor_b64 s[0:1], s[16:17], s[14:15]
	s_and_b64 s[0:1], s[0:1], exec
	s_cselect_b32 s0, 1, s10
	v_mad_u64_u32 v[9:10], s[2:3], s0, v15, 0
	s_cselect_b32 s1, 0, s11
	s_load_dwordx2 s[2:3], s[4:5], 0x40
	s_load_dwordx2 s[14:15], s[4:5], 0x50
	v_mov_b32_e32 v0, v10
	v_mad_u64_u32 v[10:11], s[10:11], s1, v15, v[0:1]
	s_xor_b64 s[4:5], s[22:23], s[20:21]
	v_lshlrev_b64 v[11:12], 4, v[17:18]
	v_lshlrev_b64 v[9:10], 4, v[9:10]
	s_and_b64 s[4:5], s[4:5], exec
	s_cselect_b32 s10, s12, 1
	v_add_co_u32_e32 v0, vcc, v9, v11
	v_addc_co_u32_e32 v11, vcc, v10, v12, vcc
	v_mad_u64_u32 v[9:10], s[4:5], s10, v15, 0
	s_cselect_b32 s11, s13, 0
	s_waitcnt lgkmcnt(0)
	v_mov_b32_e32 v12, s3
	v_add_co_u32_e32 v17, vcc, s2, v0
	v_mov_b32_e32 v0, v10
	v_addc_co_u32_e32 v12, vcc, v12, v11, vcc
	v_mad_u64_u32 v[10:11], s[2:3], s11, v15, v[0:1]
	v_add_co_u32_e32 v17, vcc, 8, v17
	v_addc_co_u32_e32 v18, vcc, 0, v12, vcc
	v_lshlrev_b64 v[9:10], 4, v[9:10]
	v_lshlrev_b64 v[11:12], 4, v[19:20]
	s_lshl_b64 s[4:5], s[0:1], 6
	v_add_co_u32_e32 v0, vcc, v9, v11
	v_addc_co_u32_e32 v9, vcc, v10, v12, vcc
	v_mov_b32_e32 v10, s15
	v_add_co_u32_e32 v0, vcc, s14, v0
	v_addc_co_u32_e32 v9, vcc, v10, v9, vcc
	v_add_co_u32_e32 v19, vcc, 8, v0
	v_mov_b32_e32 v11, 0
	v_addc_co_u32_e32 v20, vcc, 0, v9, vcc
	s_lshl_b64 s[10:11], s[10:11], 6
	v_mov_b32_e32 v12, 0
	v_mov_b32_e32 v22, v16
	;; [unrolled: 1-line block ×3, first 2 shown]
	s_mov_b64 s[12:13], 0
	v_mov_b32_e32 v0, s5
	v_mov_b32_e32 v24, s11
	;; [unrolled: 1-line block ×4, first 2 shown]
.LBB57_27:                              ; =>This Inner Loop Header: Depth=1
	global_load_dwordx4 v[25:28], v[19:20], off offset:-8
	global_load_dwordx4 v[29:32], v[17:18], off offset:-8
	v_add_co_u32_e32 v17, vcc, s4, v17
	v_add_co_u32_e64 v21, s[2:3], 4, v21
	v_addc_co_u32_e64 v22, s[2:3], 0, v22, s[2:3]
	v_addc_co_u32_e32 v18, vcc, v18, v0, vcc
	v_cmp_le_i64_e32 vcc, s[8:9], v[21:22]
	v_add_co_u32_e64 v19, s[0:1], s10, v19
	s_or_b64 s[12:13], vcc, s[12:13]
	v_addc_co_u32_e64 v20, vcc, v20, v24, s[0:1]
	s_waitcnt vmcnt(0)
	v_mul_f64 v[33:34], v[27:28], -v[31:32]
	v_mul_f64 v[27:28], v[27:28], v[29:30]
	v_fma_f64 v[29:30], v[29:30], v[25:26], v[33:34]
	v_fma_f64 v[25:26], v[31:32], v[25:26], v[27:28]
	v_add_f64 v[9:10], v[9:10], v[29:30]
	v_add_f64 v[11:12], v[11:12], v[25:26]
	s_andn2_b64 exec, exec, s[12:13]
	s_cbranch_execnz .LBB57_27
; %bb.28:
	s_or_b64 exec, exec, s[12:13]
.LBB57_29:
	s_or_b64 exec, exec, s[18:19]
	v_lshlrev_b32_e32 v0, 6, v23
	v_lshl_or_b32 v16, v15, 4, v0
	v_cmp_gt_u32_e32 vcc, 2, v15
	ds_write_b128 v16, v[9:12]
	s_waitcnt lgkmcnt(0)
	s_barrier
	s_and_saveexec_b64 s[0:1], vcc
	s_cbranch_execz .LBB57_31
; %bb.30:
	ds_read_b128 v[9:12], v16
	ds_read_b128 v[17:20], v16 offset:32
	s_waitcnt lgkmcnt(0)
	v_add_f64 v[9:10], v[17:18], v[9:10]
	v_add_f64 v[11:12], v[19:20], v[11:12]
	ds_write_b128 v16, v[9:12]
.LBB57_31:
	s_or_b64 exec, exec, s[0:1]
	v_cmp_eq_u32_e32 vcc, 0, v15
	s_waitcnt lgkmcnt(0)
	s_barrier
	s_and_saveexec_b64 s[0:1], vcc
	s_cbranch_execz .LBB57_33
; %bb.32:
	ds_read_b128 v[9:12], v16
	ds_read_b128 v[17:20], v16 offset:16
	s_waitcnt lgkmcnt(0)
	v_add_f64 v[9:10], v[17:18], v[9:10]
	v_add_f64 v[11:12], v[19:20], v[11:12]
	ds_write_b128 v16, v[9:12]
.LBB57_33:
	s_or_b64 exec, exec, s[0:1]
	s_waitcnt lgkmcnt(0)
	s_barrier
	s_and_b64 exec, exec, vcc
	s_cbranch_execz .LBB57_35
; %bb.34:
	v_lshlrev_b64 v[9:10], 4, v[13:14]
	v_mov_b32_e32 v11, s7
	v_add_co_u32_e32 v17, vcc, s6, v9
	v_addc_co_u32_e32 v18, vcc, v11, v10, vcc
	global_load_dwordx4 v[9:12], v[17:18], off
	ds_read_b128 v[13:16], v0
	s_waitcnt lgkmcnt(0)
	v_mul_f64 v[19:20], v[15:16], -v[3:4]
	v_mul_f64 v[15:16], v[1:2], v[15:16]
	v_fma_f64 v[0:1], v[1:2], v[13:14], v[19:20]
	v_fma_f64 v[2:3], v[3:4], v[13:14], v[15:16]
	s_waitcnt vmcnt(0)
	v_mul_f64 v[21:22], v[7:8], -v[11:12]
	v_mul_f64 v[7:8], v[7:8], v[9:10]
	v_fma_f64 v[9:10], v[9:10], v[5:6], v[21:22]
	v_fma_f64 v[4:5], v[11:12], v[5:6], v[7:8]
	v_add_f64 v[0:1], v[9:10], v[0:1]
	v_add_f64 v[2:3], v[4:5], v[2:3]
	global_store_dwordx4 v[17:18], v[0:3], off
.LBB57_35:
	s_endpgm
	.section	.rodata,"a",@progbits
	.p2align	6, 0x0
	.amdhsa_kernel _ZN9rocsparseL16sddmm_ell_kernelILi512ELi4E21rocsparse_complex_numIdEllS2_S2_S2_EEv20rocsparse_operation_S3_16rocsparse_order_S4_T3_S5_S5_T2_NS_24const_host_device_scalarIT1_EEPKT4_lPKT5_lS9_PT6_PKS5_21rocsparse_index_base_b
		.amdhsa_group_segment_fixed_size 8192
		.amdhsa_private_segment_fixed_size 0
		.amdhsa_kernarg_size 136
		.amdhsa_user_sgpr_count 6
		.amdhsa_user_sgpr_private_segment_buffer 1
		.amdhsa_user_sgpr_dispatch_ptr 0
		.amdhsa_user_sgpr_queue_ptr 0
		.amdhsa_user_sgpr_kernarg_segment_ptr 1
		.amdhsa_user_sgpr_dispatch_id 0
		.amdhsa_user_sgpr_flat_scratch_init 0
		.amdhsa_user_sgpr_private_segment_size 0
		.amdhsa_uses_dynamic_stack 0
		.amdhsa_system_sgpr_private_segment_wavefront_offset 0
		.amdhsa_system_sgpr_workgroup_id_x 1
		.amdhsa_system_sgpr_workgroup_id_y 0
		.amdhsa_system_sgpr_workgroup_id_z 0
		.amdhsa_system_sgpr_workgroup_info 0
		.amdhsa_system_vgpr_workitem_id 0
		.amdhsa_next_free_vgpr 35
		.amdhsa_next_free_sgpr 24
		.amdhsa_reserve_vcc 1
		.amdhsa_reserve_flat_scratch 0
		.amdhsa_float_round_mode_32 0
		.amdhsa_float_round_mode_16_64 0
		.amdhsa_float_denorm_mode_32 3
		.amdhsa_float_denorm_mode_16_64 3
		.amdhsa_dx10_clamp 1
		.amdhsa_ieee_mode 1
		.amdhsa_fp16_overflow 0
		.amdhsa_exception_fp_ieee_invalid_op 0
		.amdhsa_exception_fp_denorm_src 0
		.amdhsa_exception_fp_ieee_div_zero 0
		.amdhsa_exception_fp_ieee_overflow 0
		.amdhsa_exception_fp_ieee_underflow 0
		.amdhsa_exception_fp_ieee_inexact 0
		.amdhsa_exception_int_div_zero 0
	.end_amdhsa_kernel
	.section	.text._ZN9rocsparseL16sddmm_ell_kernelILi512ELi4E21rocsparse_complex_numIdEllS2_S2_S2_EEv20rocsparse_operation_S3_16rocsparse_order_S4_T3_S5_S5_T2_NS_24const_host_device_scalarIT1_EEPKT4_lPKT5_lS9_PT6_PKS5_21rocsparse_index_base_b,"axG",@progbits,_ZN9rocsparseL16sddmm_ell_kernelILi512ELi4E21rocsparse_complex_numIdEllS2_S2_S2_EEv20rocsparse_operation_S3_16rocsparse_order_S4_T3_S5_S5_T2_NS_24const_host_device_scalarIT1_EEPKT4_lPKT5_lS9_PT6_PKS5_21rocsparse_index_base_b,comdat
.Lfunc_end57:
	.size	_ZN9rocsparseL16sddmm_ell_kernelILi512ELi4E21rocsparse_complex_numIdEllS2_S2_S2_EEv20rocsparse_operation_S3_16rocsparse_order_S4_T3_S5_S5_T2_NS_24const_host_device_scalarIT1_EEPKT4_lPKT5_lS9_PT6_PKS5_21rocsparse_index_base_b, .Lfunc_end57-_ZN9rocsparseL16sddmm_ell_kernelILi512ELi4E21rocsparse_complex_numIdEllS2_S2_S2_EEv20rocsparse_operation_S3_16rocsparse_order_S4_T3_S5_S5_T2_NS_24const_host_device_scalarIT1_EEPKT4_lPKT5_lS9_PT6_PKS5_21rocsparse_index_base_b
                                        ; -- End function
	.set _ZN9rocsparseL16sddmm_ell_kernelILi512ELi4E21rocsparse_complex_numIdEllS2_S2_S2_EEv20rocsparse_operation_S3_16rocsparse_order_S4_T3_S5_S5_T2_NS_24const_host_device_scalarIT1_EEPKT4_lPKT5_lS9_PT6_PKS5_21rocsparse_index_base_b.num_vgpr, 35
	.set _ZN9rocsparseL16sddmm_ell_kernelILi512ELi4E21rocsparse_complex_numIdEllS2_S2_S2_EEv20rocsparse_operation_S3_16rocsparse_order_S4_T3_S5_S5_T2_NS_24const_host_device_scalarIT1_EEPKT4_lPKT5_lS9_PT6_PKS5_21rocsparse_index_base_b.num_agpr, 0
	.set _ZN9rocsparseL16sddmm_ell_kernelILi512ELi4E21rocsparse_complex_numIdEllS2_S2_S2_EEv20rocsparse_operation_S3_16rocsparse_order_S4_T3_S5_S5_T2_NS_24const_host_device_scalarIT1_EEPKT4_lPKT5_lS9_PT6_PKS5_21rocsparse_index_base_b.numbered_sgpr, 24
	.set _ZN9rocsparseL16sddmm_ell_kernelILi512ELi4E21rocsparse_complex_numIdEllS2_S2_S2_EEv20rocsparse_operation_S3_16rocsparse_order_S4_T3_S5_S5_T2_NS_24const_host_device_scalarIT1_EEPKT4_lPKT5_lS9_PT6_PKS5_21rocsparse_index_base_b.num_named_barrier, 0
	.set _ZN9rocsparseL16sddmm_ell_kernelILi512ELi4E21rocsparse_complex_numIdEllS2_S2_S2_EEv20rocsparse_operation_S3_16rocsparse_order_S4_T3_S5_S5_T2_NS_24const_host_device_scalarIT1_EEPKT4_lPKT5_lS9_PT6_PKS5_21rocsparse_index_base_b.private_seg_size, 0
	.set _ZN9rocsparseL16sddmm_ell_kernelILi512ELi4E21rocsparse_complex_numIdEllS2_S2_S2_EEv20rocsparse_operation_S3_16rocsparse_order_S4_T3_S5_S5_T2_NS_24const_host_device_scalarIT1_EEPKT4_lPKT5_lS9_PT6_PKS5_21rocsparse_index_base_b.uses_vcc, 1
	.set _ZN9rocsparseL16sddmm_ell_kernelILi512ELi4E21rocsparse_complex_numIdEllS2_S2_S2_EEv20rocsparse_operation_S3_16rocsparse_order_S4_T3_S5_S5_T2_NS_24const_host_device_scalarIT1_EEPKT4_lPKT5_lS9_PT6_PKS5_21rocsparse_index_base_b.uses_flat_scratch, 0
	.set _ZN9rocsparseL16sddmm_ell_kernelILi512ELi4E21rocsparse_complex_numIdEllS2_S2_S2_EEv20rocsparse_operation_S3_16rocsparse_order_S4_T3_S5_S5_T2_NS_24const_host_device_scalarIT1_EEPKT4_lPKT5_lS9_PT6_PKS5_21rocsparse_index_base_b.has_dyn_sized_stack, 0
	.set _ZN9rocsparseL16sddmm_ell_kernelILi512ELi4E21rocsparse_complex_numIdEllS2_S2_S2_EEv20rocsparse_operation_S3_16rocsparse_order_S4_T3_S5_S5_T2_NS_24const_host_device_scalarIT1_EEPKT4_lPKT5_lS9_PT6_PKS5_21rocsparse_index_base_b.has_recursion, 0
	.set _ZN9rocsparseL16sddmm_ell_kernelILi512ELi4E21rocsparse_complex_numIdEllS2_S2_S2_EEv20rocsparse_operation_S3_16rocsparse_order_S4_T3_S5_S5_T2_NS_24const_host_device_scalarIT1_EEPKT4_lPKT5_lS9_PT6_PKS5_21rocsparse_index_base_b.has_indirect_call, 0
	.section	.AMDGPU.csdata,"",@progbits
; Kernel info:
; codeLenInByte = 2000
; TotalNumSgprs: 28
; NumVgprs: 35
; ScratchSize: 0
; MemoryBound: 0
; FloatMode: 240
; IeeeMode: 1
; LDSByteSize: 8192 bytes/workgroup (compile time only)
; SGPRBlocks: 3
; VGPRBlocks: 8
; NumSGPRsForWavesPerEU: 28
; NumVGPRsForWavesPerEU: 35
; Occupancy: 7
; WaveLimiterHint : 1
; COMPUTE_PGM_RSRC2:SCRATCH_EN: 0
; COMPUTE_PGM_RSRC2:USER_SGPR: 6
; COMPUTE_PGM_RSRC2:TRAP_HANDLER: 0
; COMPUTE_PGM_RSRC2:TGID_X_EN: 1
; COMPUTE_PGM_RSRC2:TGID_Y_EN: 0
; COMPUTE_PGM_RSRC2:TGID_Z_EN: 0
; COMPUTE_PGM_RSRC2:TIDIG_COMP_CNT: 0
	.section	.text._ZN9rocsparseL16sddmm_ell_kernelILi512ELi2E21rocsparse_complex_numIdEllS2_S2_S2_EEv20rocsparse_operation_S3_16rocsparse_order_S4_T3_S5_S5_T2_NS_24const_host_device_scalarIT1_EEPKT4_lPKT5_lS9_PT6_PKS5_21rocsparse_index_base_b,"axG",@progbits,_ZN9rocsparseL16sddmm_ell_kernelILi512ELi2E21rocsparse_complex_numIdEllS2_S2_S2_EEv20rocsparse_operation_S3_16rocsparse_order_S4_T3_S5_S5_T2_NS_24const_host_device_scalarIT1_EEPKT4_lPKT5_lS9_PT6_PKS5_21rocsparse_index_base_b,comdat
	.globl	_ZN9rocsparseL16sddmm_ell_kernelILi512ELi2E21rocsparse_complex_numIdEllS2_S2_S2_EEv20rocsparse_operation_S3_16rocsparse_order_S4_T3_S5_S5_T2_NS_24const_host_device_scalarIT1_EEPKT4_lPKT5_lS9_PT6_PKS5_21rocsparse_index_base_b ; -- Begin function _ZN9rocsparseL16sddmm_ell_kernelILi512ELi2E21rocsparse_complex_numIdEllS2_S2_S2_EEv20rocsparse_operation_S3_16rocsparse_order_S4_T3_S5_S5_T2_NS_24const_host_device_scalarIT1_EEPKT4_lPKT5_lS9_PT6_PKS5_21rocsparse_index_base_b
	.p2align	8
	.type	_ZN9rocsparseL16sddmm_ell_kernelILi512ELi2E21rocsparse_complex_numIdEllS2_S2_S2_EEv20rocsparse_operation_S3_16rocsparse_order_S4_T3_S5_S5_T2_NS_24const_host_device_scalarIT1_EEPKT4_lPKT5_lS9_PT6_PKS5_21rocsparse_index_base_b,@function
_ZN9rocsparseL16sddmm_ell_kernelILi512ELi2E21rocsparse_complex_numIdEllS2_S2_S2_EEv20rocsparse_operation_S3_16rocsparse_order_S4_T3_S5_S5_T2_NS_24const_host_device_scalarIT1_EEPKT4_lPKT5_lS9_PT6_PKS5_21rocsparse_index_base_b: ; @_ZN9rocsparseL16sddmm_ell_kernelILi512ELi2E21rocsparse_complex_numIdEllS2_S2_S2_EEv20rocsparse_operation_S3_16rocsparse_order_S4_T3_S5_S5_T2_NS_24const_host_device_scalarIT1_EEPKT4_lPKT5_lS9_PT6_PKS5_21rocsparse_index_base_b
; %bb.0:
	s_load_dwordx2 s[0:1], s[4:5], 0x30
	s_load_dwordx4 s[12:15], s[4:5], 0x58
	s_load_dwordx2 s[16:17], s[4:5], 0x80
	s_add_u32 s2, s4, 48
	s_addc_u32 s3, s5, 0
	s_add_u32 s7, s4, 0x60
	s_addc_u32 s8, s5, 0
	s_waitcnt lgkmcnt(0)
	s_bitcmp1_b32 s17, 0
	s_cselect_b32 s1, s3, s1
	s_cselect_b32 s0, s2, s0
	v_mov_b32_e32 v1, s0
	v_mov_b32_e32 v2, s1
	flat_load_dwordx4 v[1:4], v[1:2]
	s_cselect_b32 s0, s8, s15
	s_cselect_b32 s1, s7, s14
	v_mov_b32_e32 v5, s1
	v_mov_b32_e32 v6, s0
	flat_load_dwordx4 v[5:8], v[5:6]
	s_waitcnt vmcnt(0) lgkmcnt(0)
	v_cmp_eq_f64_e32 vcc, 0, v[1:2]
	v_cmp_eq_f64_e64 s[0:1], 0, v[3:4]
	s_and_b64 s[8:9], vcc, s[0:1]
	s_mov_b64 s[0:1], -1
	s_and_saveexec_b64 s[2:3], s[8:9]
	s_cbranch_execz .LBB58_2
; %bb.1:
	v_cmp_neq_f64_e32 vcc, 1.0, v[5:6]
	v_cmp_neq_f64_e64 s[0:1], 0, v[7:8]
	s_or_b64 s[0:1], vcc, s[0:1]
	s_orn2_b64 s[0:1], s[0:1], exec
.LBB58_2:
	s_or_b64 exec, exec, s[2:3]
	s_and_saveexec_b64 s[2:3], s[0:1]
	s_cbranch_execz .LBB58_33
; %bb.3:
	s_load_dwordx4 s[8:11], s[4:5], 0x20
	v_lshrrev_b32_e32 v23, 1, v0
	v_lshl_or_b32 v13, s6, 8, v23
	v_mov_b32_e32 v14, 0
	s_waitcnt lgkmcnt(0)
	v_cmp_gt_i64_e32 vcc, s[10:11], v[13:14]
	s_and_b64 exec, exec, vcc
	s_cbranch_execz .LBB58_33
; %bb.4:
	s_load_dwordx2 s[10:11], s[4:5], 0x10
	s_load_dwordx2 s[6:7], s[4:5], 0x78
	s_mov_b32 s0, 0
                                        ; implicit-def: $vgpr11_vgpr12
	s_waitcnt lgkmcnt(0)
	s_mov_b32 s1, s11
	s_cmp_lg_u64 s[0:1], 0
	s_cselect_b64 s[0:1], -1, 0
	s_and_saveexec_b64 s[2:3], s[0:1]
	s_xor_b64 s[14:15], exec, s[2:3]
	s_cbranch_execz .LBB58_6
; %bb.5:
	s_ashr_i32 s0, s11, 31
	s_add_u32 s2, s10, s0
	s_mov_b32 s1, s0
	s_addc_u32 s3, s11, s0
	s_xor_b64 s[18:19], s[2:3], s[0:1]
	v_cvt_f32_u32_e32 v9, s18
	v_cvt_f32_u32_e32 v10, s19
	s_sub_u32 s2, 0, s18
	s_subb_u32 s3, 0, s19
	v_add_co_u32_e32 v15, vcc, 0, v13
	v_madmk_f32 v9, v10, 0x4f800000, v9
	v_rcp_f32_e32 v9, v9
	v_mul_f32_e32 v9, 0x5f7ffffc, v9
	v_mul_f32_e32 v10, 0x2f800000, v9
	v_trunc_f32_e32 v10, v10
	v_madmk_f32 v9, v10, 0xcf800000, v9
	v_cvt_u32_f32_e32 v10, v10
	v_cvt_u32_f32_e32 v9, v9
	v_readfirstlane_b32 s11, v10
	v_readfirstlane_b32 s0, v9
	s_mul_i32 s1, s2, s11
	s_mul_hi_u32 s20, s2, s0
	s_mul_i32 s17, s3, s0
	s_add_i32 s1, s20, s1
	s_add_i32 s1, s1, s17
	s_mul_i32 s21, s2, s0
	s_mul_i32 s20, s0, s1
	s_mul_hi_u32 s22, s0, s21
	s_mul_hi_u32 s17, s0, s1
	s_add_u32 s20, s22, s20
	s_addc_u32 s17, 0, s17
	s_mul_hi_u32 s23, s11, s21
	s_mul_i32 s21, s11, s21
	s_add_u32 s20, s20, s21
	s_mul_hi_u32 s22, s11, s1
	s_addc_u32 s17, s17, s23
	s_addc_u32 s20, s22, 0
	s_mul_i32 s1, s11, s1
	s_add_u32 s1, s17, s1
	s_addc_u32 s17, 0, s20
	s_add_u32 s20, s0, s1
	s_cselect_b64 s[0:1], -1, 0
	s_cmp_lg_u64 s[0:1], 0
	s_addc_u32 s11, s11, s17
	s_mul_i32 s0, s2, s11
	s_mul_hi_u32 s1, s2, s20
	s_add_i32 s0, s1, s0
	s_mul_i32 s3, s3, s20
	s_add_i32 s0, s0, s3
	s_mul_i32 s2, s2, s20
	s_mul_hi_u32 s3, s11, s2
	s_mul_i32 s17, s11, s2
	s_mul_i32 s22, s20, s0
	s_mul_hi_u32 s2, s20, s2
	s_mul_hi_u32 s21, s20, s0
	s_add_u32 s2, s2, s22
	s_addc_u32 s21, 0, s21
	s_add_u32 s2, s2, s17
	s_mul_hi_u32 s1, s11, s0
	s_addc_u32 s2, s21, s3
	s_addc_u32 s1, s1, 0
	s_mul_i32 s0, s11, s0
	s_add_u32 s0, s2, s0
	s_addc_u32 s2, 0, s1
	s_add_u32 s3, s20, s0
	s_cselect_b64 s[0:1], -1, 0
	s_cmp_lg_u64 s[0:1], 0
	s_addc_u32 s2, s11, s2
	v_mad_u64_u32 v[9:10], s[0:1], v15, s2, 0
	v_mul_hi_u32 v11, v15, s3
	v_addc_co_u32_e64 v16, s[0:1], 0, 0, vcc
	v_add_co_u32_e32 v17, vcc, v11, v9
	v_addc_co_u32_e32 v18, vcc, 0, v10, vcc
	v_mad_u64_u32 v[9:10], s[0:1], v16, s3, 0
	v_mad_u64_u32 v[11:12], s[0:1], v16, s2, 0
	v_add_co_u32_e32 v9, vcc, v17, v9
	v_addc_co_u32_e32 v9, vcc, v18, v10, vcc
	v_addc_co_u32_e32 v10, vcc, 0, v12, vcc
	v_add_co_u32_e32 v9, vcc, v9, v11
	v_addc_co_u32_e32 v10, vcc, 0, v10, vcc
	v_mul_lo_u32 v11, s19, v9
	v_mul_lo_u32 v12, s18, v10
	v_mad_u64_u32 v[9:10], s[0:1], s18, v9, 0
	v_add3_u32 v10, v10, v12, v11
	v_sub_u32_e32 v11, v16, v10
	v_mov_b32_e32 v12, s19
	v_sub_co_u32_e32 v9, vcc, v15, v9
	v_subb_co_u32_e64 v11, s[0:1], v11, v12, vcc
	v_subrev_co_u32_e64 v15, s[0:1], s18, v9
	v_subbrev_co_u32_e64 v17, s[2:3], 0, v11, s[0:1]
	v_cmp_le_u32_e64 s[2:3], s19, v17
	v_cndmask_b32_e64 v18, 0, -1, s[2:3]
	v_cmp_le_u32_e64 s[2:3], s18, v15
	v_subb_co_u32_e64 v11, s[0:1], v11, v12, s[0:1]
	v_cndmask_b32_e64 v19, 0, -1, s[2:3]
	v_cmp_eq_u32_e64 s[2:3], s19, v17
	v_subrev_co_u32_e64 v12, s[0:1], s18, v15
	v_subb_co_u32_e32 v10, vcc, v16, v10, vcc
	v_cndmask_b32_e64 v18, v18, v19, s[2:3]
	v_subbrev_co_u32_e64 v11, s[0:1], 0, v11, s[0:1]
	v_cmp_le_u32_e32 vcc, s19, v10
	v_cmp_ne_u32_e64 s[0:1], 0, v18
	v_cndmask_b32_e64 v16, 0, -1, vcc
	v_cmp_le_u32_e32 vcc, s18, v9
	v_cndmask_b32_e64 v11, v17, v11, s[0:1]
	v_cndmask_b32_e64 v17, 0, -1, vcc
	v_cmp_eq_u32_e32 vcc, s19, v10
	v_cndmask_b32_e32 v16, v16, v17, vcc
	v_cmp_ne_u32_e32 vcc, 0, v16
	v_cndmask_b32_e32 v10, v10, v11, vcc
	v_cndmask_b32_e64 v11, v15, v12, s[0:1]
	v_cndmask_b32_e32 v9, v9, v11, vcc
	v_subrev_co_u32_e32 v11, vcc, 0, v9
	v_subbrev_co_u32_e32 v12, vcc, 0, v10, vcc
.LBB58_6:
	s_andn2_saveexec_b64 s[0:1], s[14:15]
	s_cbranch_execz .LBB58_8
; %bb.7:
	v_cvt_f32_u32_e32 v9, s10
	s_sub_i32 s2, 0, s10
	v_mov_b32_e32 v12, 0
	v_rcp_iflag_f32_e32 v9, v9
	v_mul_f32_e32 v9, 0x4f7ffffe, v9
	v_cvt_u32_f32_e32 v9, v9
	v_mul_lo_u32 v10, s2, v9
	v_mul_hi_u32 v10, v9, v10
	v_add_u32_e32 v9, v9, v10
	v_mul_hi_u32 v9, v13, v9
	v_mul_lo_u32 v9, v9, s10
	v_sub_u32_e32 v9, v13, v9
	v_subrev_u32_e32 v10, s10, v9
	v_cmp_le_u32_e32 vcc, s10, v9
	v_cndmask_b32_e32 v9, v9, v10, vcc
	v_subrev_u32_e32 v10, s10, v9
	v_cmp_le_u32_e32 vcc, s10, v9
	v_cndmask_b32_e32 v11, v9, v10, vcc
.LBB58_8:
	s_or_b64 exec, exec, s[0:1]
	v_lshlrev_b64 v[9:10], 3, v[13:14]
	v_mov_b32_e32 v15, s7
	v_add_co_u32_e32 v9, vcc, s6, v9
	v_addc_co_u32_e32 v10, vcc, v15, v10, vcc
	global_load_dwordx2 v[9:10], v[9:10], off
	s_mov_b64 s[18:19], -1
	s_waitcnt vmcnt(0)
	v_subrev_co_u32_e32 v9, vcc, s16, v9
	v_subbrev_co_u32_e32 v10, vcc, 0, v10, vcc
	v_cmp_lt_i64_e32 vcc, -1, v[9:10]
	s_and_b64 exec, exec, vcc
	s_cbranch_execz .LBB58_33
; %bb.9:
	s_load_dwordx4 s[0:3], s[4:5], 0x0
	s_load_dwordx2 s[10:11], s[4:5], 0x48
                                        ; implicit-def: $vgpr17_vgpr18
	s_waitcnt lgkmcnt(0)
	s_cmp_eq_u32 s2, 1
	s_cselect_b64 s[14:15], -1, 0
	s_cmpk_eq_i32 s0, 0x6f
	s_cselect_b64 s[16:17], -1, 0
	s_cmpk_lg_i32 s0, 0x6f
	s_cselect_b64 s[6:7], -1, 0
	s_cmp_lg_u32 s2, 1
	s_cbranch_scc0 .LBB58_13
; %bb.10:
	v_mov_b32_e32 v18, v12
	s_andn2_b64 vcc, exec, s[16:17]
	v_mov_b32_e32 v17, v11
	s_cbranch_vccnz .LBB58_12
; %bb.11:
	v_mul_lo_u32 v15, v12, s10
	v_mul_lo_u32 v16, v11, s11
	v_mad_u64_u32 v[17:18], s[18:19], v11, s10, 0
	v_add3_u32 v18, v18, v16, v15
.LBB58_12:
	s_mov_b64 s[18:19], 0
.LBB58_13:
	s_andn2_b64 vcc, exec, s[18:19]
	s_cbranch_vccnz .LBB58_17
; %bb.14:
	s_andn2_b64 vcc, exec, s[6:7]
	s_cbranch_vccnz .LBB58_16
; %bb.15:
	v_mul_lo_u32 v15, v12, s10
	v_mul_lo_u32 v16, v11, s11
	v_mad_u64_u32 v[11:12], s[6:7], v11, s10, 0
	v_add3_u32 v12, v12, v16, v15
.LBB58_16:
	v_mov_b32_e32 v18, v12
	v_mov_b32_e32 v17, v11
.LBB58_17:
	s_cmp_eq_u32 s3, 1
	s_cselect_b64 s[20:21], -1, 0
	s_cmpk_eq_i32 s1, 0x6f
	s_cselect_b64 s[22:23], -1, 0
	s_cmpk_lg_i32 s1, 0x6f
	s_cselect_b64 s[0:1], -1, 0
	s_cmp_lg_u32 s3, 1
	s_cbranch_scc0 .LBB58_21
; %bb.18:
	v_mov_b32_e32 v20, v10
	s_andn2_b64 vcc, exec, s[0:1]
	v_mov_b32_e32 v19, v9
	s_cbranch_vccnz .LBB58_20
; %bb.19:
	v_mul_lo_u32 v11, v10, s12
	v_mul_lo_u32 v12, v9, s13
	v_mad_u64_u32 v[19:20], s[0:1], v9, s12, 0
	v_add3_u32 v20, v20, v12, v11
.LBB58_20:
	s_cbranch_execz .LBB58_22
	s_branch .LBB58_25
.LBB58_21:
                                        ; implicit-def: $vgpr19_vgpr20
.LBB58_22:
	s_andn2_b64 vcc, exec, s[22:23]
	s_cbranch_vccnz .LBB58_24
; %bb.23:
	v_mul_lo_u32 v11, v10, s12
	v_mul_lo_u32 v12, v9, s13
	v_mad_u64_u32 v[9:10], s[0:1], v9, s12, 0
	v_add3_u32 v10, v10, v12, v11
.LBB58_24:
	v_mov_b32_e32 v20, v10
	v_mov_b32_e32 v19, v9
.LBB58_25:
	s_load_dwordx2 s[6:7], s[4:5], 0x70
	v_and_b32_e32 v15, 1, v0
	v_mov_b32_e32 v16, 0
	v_cmp_gt_i64_e32 vcc, s[8:9], v[15:16]
	v_mov_b32_e32 v11, 0
	v_mov_b32_e32 v9, 0
	;; [unrolled: 1-line block ×4, first 2 shown]
	s_and_saveexec_b64 s[18:19], vcc
	s_cbranch_execz .LBB58_29
; %bb.26:
	s_load_dwordx2 s[0:1], s[4:5], 0x40
	s_load_dwordx2 s[2:3], s[4:5], 0x50
	s_xor_b64 s[4:5], s[16:17], s[14:15]
	s_and_b64 s[4:5], s[4:5], exec
	s_cselect_b32 s5, 0, s11
	s_cselect_b32 s4, 1, s10
	v_mul_lo_u32 v10, s5, v15
	v_mul_lo_u32 v9, s4, v15
	v_lshlrev_b64 v[11:12], 4, v[17:18]
	s_xor_b64 s[10:11], s[22:23], s[20:21]
	s_and_b64 s[10:11], s[10:11], exec
	v_lshlrev_b64 v[9:10], 4, v[9:10]
	s_cselect_b32 s11, s13, 0
	v_add_co_u32_e32 v0, vcc, v9, v11
	v_addc_co_u32_e32 v9, vcc, v10, v12, vcc
	s_cselect_b32 s10, s12, 1
	s_waitcnt lgkmcnt(0)
	v_mov_b32_e32 v10, s1
	v_add_co_u32_e32 v0, vcc, s0, v0
	v_addc_co_u32_e32 v11, vcc, v10, v9, vcc
	v_mul_lo_u32 v10, s11, v15
	v_mul_lo_u32 v9, s10, v15
	v_add_co_u32_e32 v17, vcc, 8, v0
	v_addc_co_u32_e32 v18, vcc, 0, v11, vcc
	v_lshlrev_b64 v[9:10], 4, v[9:10]
	v_lshlrev_b64 v[11:12], 4, v[19:20]
	s_lshl_b64 s[4:5], s[4:5], 5
	v_add_co_u32_e32 v0, vcc, v9, v11
	v_addc_co_u32_e32 v9, vcc, v10, v12, vcc
	v_mov_b32_e32 v10, s3
	v_add_co_u32_e32 v0, vcc, s2, v0
	v_addc_co_u32_e32 v9, vcc, v10, v9, vcc
	v_add_co_u32_e32 v19, vcc, 8, v0
	v_mov_b32_e32 v11, 0
	v_addc_co_u32_e32 v20, vcc, 0, v9, vcc
	s_lshl_b64 s[10:11], s[10:11], 5
	v_mov_b32_e32 v12, 0
	v_mov_b32_e32 v22, v16
	;; [unrolled: 1-line block ×3, first 2 shown]
	s_mov_b64 s[12:13], 0
	v_mov_b32_e32 v0, s5
	v_mov_b32_e32 v24, s11
	;; [unrolled: 1-line block ×4, first 2 shown]
.LBB58_27:                              ; =>This Inner Loop Header: Depth=1
	global_load_dwordx4 v[25:28], v[19:20], off offset:-8
	global_load_dwordx4 v[29:32], v[17:18], off offset:-8
	v_add_co_u32_e32 v17, vcc, s4, v17
	v_add_co_u32_e64 v21, s[2:3], 2, v21
	v_addc_co_u32_e64 v22, s[2:3], 0, v22, s[2:3]
	v_addc_co_u32_e32 v18, vcc, v18, v0, vcc
	v_cmp_le_i64_e32 vcc, s[8:9], v[21:22]
	v_add_co_u32_e64 v19, s[0:1], s10, v19
	s_or_b64 s[12:13], vcc, s[12:13]
	v_addc_co_u32_e64 v20, vcc, v20, v24, s[0:1]
	s_waitcnt vmcnt(0)
	v_mul_f64 v[33:34], v[27:28], -v[31:32]
	v_mul_f64 v[27:28], v[27:28], v[29:30]
	v_fma_f64 v[29:30], v[29:30], v[25:26], v[33:34]
	v_fma_f64 v[25:26], v[31:32], v[25:26], v[27:28]
	v_add_f64 v[9:10], v[9:10], v[29:30]
	v_add_f64 v[11:12], v[11:12], v[25:26]
	s_andn2_b64 exec, exec, s[12:13]
	s_cbranch_execnz .LBB58_27
; %bb.28:
	s_or_b64 exec, exec, s[12:13]
.LBB58_29:
	s_or_b64 exec, exec, s[18:19]
	v_lshlrev_b32_e32 v0, 5, v23
	v_lshl_or_b32 v16, v15, 4, v0
	v_cmp_eq_u32_e32 vcc, 0, v15
	ds_write_b128 v16, v[9:12]
	s_waitcnt lgkmcnt(0)
	s_barrier
	s_and_saveexec_b64 s[0:1], vcc
	s_cbranch_execz .LBB58_31
; %bb.30:
	ds_read_b128 v[9:12], v0 offset:16
	ds_read_b128 v[17:20], v16
	s_waitcnt lgkmcnt(0)
	v_add_f64 v[9:10], v[9:10], v[17:18]
	v_add_f64 v[11:12], v[11:12], v[19:20]
	ds_write_b128 v16, v[9:12]
.LBB58_31:
	s_or_b64 exec, exec, s[0:1]
	s_waitcnt lgkmcnt(0)
	s_barrier
	s_and_b64 exec, exec, vcc
	s_cbranch_execz .LBB58_33
; %bb.32:
	v_lshlrev_b64 v[9:10], 4, v[13:14]
	v_mov_b32_e32 v11, s7
	v_add_co_u32_e32 v17, vcc, s6, v9
	v_addc_co_u32_e32 v18, vcc, v11, v10, vcc
	global_load_dwordx4 v[9:12], v[17:18], off
	ds_read_b128 v[13:16], v0
	s_waitcnt lgkmcnt(0)
	v_mul_f64 v[19:20], v[15:16], -v[3:4]
	v_mul_f64 v[15:16], v[1:2], v[15:16]
	v_fma_f64 v[0:1], v[1:2], v[13:14], v[19:20]
	v_fma_f64 v[2:3], v[3:4], v[13:14], v[15:16]
	s_waitcnt vmcnt(0)
	v_mul_f64 v[21:22], v[7:8], -v[11:12]
	v_mul_f64 v[7:8], v[7:8], v[9:10]
	v_fma_f64 v[9:10], v[9:10], v[5:6], v[21:22]
	v_fma_f64 v[4:5], v[11:12], v[5:6], v[7:8]
	v_add_f64 v[0:1], v[9:10], v[0:1]
	v_add_f64 v[2:3], v[4:5], v[2:3]
	global_store_dwordx4 v[17:18], v[0:3], off
.LBB58_33:
	s_endpgm
	.section	.rodata,"a",@progbits
	.p2align	6, 0x0
	.amdhsa_kernel _ZN9rocsparseL16sddmm_ell_kernelILi512ELi2E21rocsparse_complex_numIdEllS2_S2_S2_EEv20rocsparse_operation_S3_16rocsparse_order_S4_T3_S5_S5_T2_NS_24const_host_device_scalarIT1_EEPKT4_lPKT5_lS9_PT6_PKS5_21rocsparse_index_base_b
		.amdhsa_group_segment_fixed_size 8192
		.amdhsa_private_segment_fixed_size 0
		.amdhsa_kernarg_size 136
		.amdhsa_user_sgpr_count 6
		.amdhsa_user_sgpr_private_segment_buffer 1
		.amdhsa_user_sgpr_dispatch_ptr 0
		.amdhsa_user_sgpr_queue_ptr 0
		.amdhsa_user_sgpr_kernarg_segment_ptr 1
		.amdhsa_user_sgpr_dispatch_id 0
		.amdhsa_user_sgpr_flat_scratch_init 0
		.amdhsa_user_sgpr_private_segment_size 0
		.amdhsa_uses_dynamic_stack 0
		.amdhsa_system_sgpr_private_segment_wavefront_offset 0
		.amdhsa_system_sgpr_workgroup_id_x 1
		.amdhsa_system_sgpr_workgroup_id_y 0
		.amdhsa_system_sgpr_workgroup_id_z 0
		.amdhsa_system_sgpr_workgroup_info 0
		.amdhsa_system_vgpr_workitem_id 0
		.amdhsa_next_free_vgpr 35
		.amdhsa_next_free_sgpr 24
		.amdhsa_reserve_vcc 1
		.amdhsa_reserve_flat_scratch 0
		.amdhsa_float_round_mode_32 0
		.amdhsa_float_round_mode_16_64 0
		.amdhsa_float_denorm_mode_32 3
		.amdhsa_float_denorm_mode_16_64 3
		.amdhsa_dx10_clamp 1
		.amdhsa_ieee_mode 1
		.amdhsa_fp16_overflow 0
		.amdhsa_exception_fp_ieee_invalid_op 0
		.amdhsa_exception_fp_denorm_src 0
		.amdhsa_exception_fp_ieee_div_zero 0
		.amdhsa_exception_fp_ieee_overflow 0
		.amdhsa_exception_fp_ieee_underflow 0
		.amdhsa_exception_fp_ieee_inexact 0
		.amdhsa_exception_int_div_zero 0
	.end_amdhsa_kernel
	.section	.text._ZN9rocsparseL16sddmm_ell_kernelILi512ELi2E21rocsparse_complex_numIdEllS2_S2_S2_EEv20rocsparse_operation_S3_16rocsparse_order_S4_T3_S5_S5_T2_NS_24const_host_device_scalarIT1_EEPKT4_lPKT5_lS9_PT6_PKS5_21rocsparse_index_base_b,"axG",@progbits,_ZN9rocsparseL16sddmm_ell_kernelILi512ELi2E21rocsparse_complex_numIdEllS2_S2_S2_EEv20rocsparse_operation_S3_16rocsparse_order_S4_T3_S5_S5_T2_NS_24const_host_device_scalarIT1_EEPKT4_lPKT5_lS9_PT6_PKS5_21rocsparse_index_base_b,comdat
.Lfunc_end58:
	.size	_ZN9rocsparseL16sddmm_ell_kernelILi512ELi2E21rocsparse_complex_numIdEllS2_S2_S2_EEv20rocsparse_operation_S3_16rocsparse_order_S4_T3_S5_S5_T2_NS_24const_host_device_scalarIT1_EEPKT4_lPKT5_lS9_PT6_PKS5_21rocsparse_index_base_b, .Lfunc_end58-_ZN9rocsparseL16sddmm_ell_kernelILi512ELi2E21rocsparse_complex_numIdEllS2_S2_S2_EEv20rocsparse_operation_S3_16rocsparse_order_S4_T3_S5_S5_T2_NS_24const_host_device_scalarIT1_EEPKT4_lPKT5_lS9_PT6_PKS5_21rocsparse_index_base_b
                                        ; -- End function
	.set _ZN9rocsparseL16sddmm_ell_kernelILi512ELi2E21rocsparse_complex_numIdEllS2_S2_S2_EEv20rocsparse_operation_S3_16rocsparse_order_S4_T3_S5_S5_T2_NS_24const_host_device_scalarIT1_EEPKT4_lPKT5_lS9_PT6_PKS5_21rocsparse_index_base_b.num_vgpr, 35
	.set _ZN9rocsparseL16sddmm_ell_kernelILi512ELi2E21rocsparse_complex_numIdEllS2_S2_S2_EEv20rocsparse_operation_S3_16rocsparse_order_S4_T3_S5_S5_T2_NS_24const_host_device_scalarIT1_EEPKT4_lPKT5_lS9_PT6_PKS5_21rocsparse_index_base_b.num_agpr, 0
	.set _ZN9rocsparseL16sddmm_ell_kernelILi512ELi2E21rocsparse_complex_numIdEllS2_S2_S2_EEv20rocsparse_operation_S3_16rocsparse_order_S4_T3_S5_S5_T2_NS_24const_host_device_scalarIT1_EEPKT4_lPKT5_lS9_PT6_PKS5_21rocsparse_index_base_b.numbered_sgpr, 24
	.set _ZN9rocsparseL16sddmm_ell_kernelILi512ELi2E21rocsparse_complex_numIdEllS2_S2_S2_EEv20rocsparse_operation_S3_16rocsparse_order_S4_T3_S5_S5_T2_NS_24const_host_device_scalarIT1_EEPKT4_lPKT5_lS9_PT6_PKS5_21rocsparse_index_base_b.num_named_barrier, 0
	.set _ZN9rocsparseL16sddmm_ell_kernelILi512ELi2E21rocsparse_complex_numIdEllS2_S2_S2_EEv20rocsparse_operation_S3_16rocsparse_order_S4_T3_S5_S5_T2_NS_24const_host_device_scalarIT1_EEPKT4_lPKT5_lS9_PT6_PKS5_21rocsparse_index_base_b.private_seg_size, 0
	.set _ZN9rocsparseL16sddmm_ell_kernelILi512ELi2E21rocsparse_complex_numIdEllS2_S2_S2_EEv20rocsparse_operation_S3_16rocsparse_order_S4_T3_S5_S5_T2_NS_24const_host_device_scalarIT1_EEPKT4_lPKT5_lS9_PT6_PKS5_21rocsparse_index_base_b.uses_vcc, 1
	.set _ZN9rocsparseL16sddmm_ell_kernelILi512ELi2E21rocsparse_complex_numIdEllS2_S2_S2_EEv20rocsparse_operation_S3_16rocsparse_order_S4_T3_S5_S5_T2_NS_24const_host_device_scalarIT1_EEPKT4_lPKT5_lS9_PT6_PKS5_21rocsparse_index_base_b.uses_flat_scratch, 0
	.set _ZN9rocsparseL16sddmm_ell_kernelILi512ELi2E21rocsparse_complex_numIdEllS2_S2_S2_EEv20rocsparse_operation_S3_16rocsparse_order_S4_T3_S5_S5_T2_NS_24const_host_device_scalarIT1_EEPKT4_lPKT5_lS9_PT6_PKS5_21rocsparse_index_base_b.has_dyn_sized_stack, 0
	.set _ZN9rocsparseL16sddmm_ell_kernelILi512ELi2E21rocsparse_complex_numIdEllS2_S2_S2_EEv20rocsparse_operation_S3_16rocsparse_order_S4_T3_S5_S5_T2_NS_24const_host_device_scalarIT1_EEPKT4_lPKT5_lS9_PT6_PKS5_21rocsparse_index_base_b.has_recursion, 0
	.set _ZN9rocsparseL16sddmm_ell_kernelILi512ELi2E21rocsparse_complex_numIdEllS2_S2_S2_EEv20rocsparse_operation_S3_16rocsparse_order_S4_T3_S5_S5_T2_NS_24const_host_device_scalarIT1_EEPKT4_lPKT5_lS9_PT6_PKS5_21rocsparse_index_base_b.has_indirect_call, 0
	.section	.AMDGPU.csdata,"",@progbits
; Kernel info:
; codeLenInByte = 1924
; TotalNumSgprs: 28
; NumVgprs: 35
; ScratchSize: 0
; MemoryBound: 0
; FloatMode: 240
; IeeeMode: 1
; LDSByteSize: 8192 bytes/workgroup (compile time only)
; SGPRBlocks: 3
; VGPRBlocks: 8
; NumSGPRsForWavesPerEU: 28
; NumVGPRsForWavesPerEU: 35
; Occupancy: 7
; WaveLimiterHint : 1
; COMPUTE_PGM_RSRC2:SCRATCH_EN: 0
; COMPUTE_PGM_RSRC2:USER_SGPR: 6
; COMPUTE_PGM_RSRC2:TRAP_HANDLER: 0
; COMPUTE_PGM_RSRC2:TGID_X_EN: 1
; COMPUTE_PGM_RSRC2:TGID_Y_EN: 0
; COMPUTE_PGM_RSRC2:TGID_Z_EN: 0
; COMPUTE_PGM_RSRC2:TIDIG_COMP_CNT: 0
	.section	.text._ZN9rocsparseL16sddmm_ell_kernelILi512ELi1E21rocsparse_complex_numIdEllS2_S2_S2_EEv20rocsparse_operation_S3_16rocsparse_order_S4_T3_S5_S5_T2_NS_24const_host_device_scalarIT1_EEPKT4_lPKT5_lS9_PT6_PKS5_21rocsparse_index_base_b,"axG",@progbits,_ZN9rocsparseL16sddmm_ell_kernelILi512ELi1E21rocsparse_complex_numIdEllS2_S2_S2_EEv20rocsparse_operation_S3_16rocsparse_order_S4_T3_S5_S5_T2_NS_24const_host_device_scalarIT1_EEPKT4_lPKT5_lS9_PT6_PKS5_21rocsparse_index_base_b,comdat
	.globl	_ZN9rocsparseL16sddmm_ell_kernelILi512ELi1E21rocsparse_complex_numIdEllS2_S2_S2_EEv20rocsparse_operation_S3_16rocsparse_order_S4_T3_S5_S5_T2_NS_24const_host_device_scalarIT1_EEPKT4_lPKT5_lS9_PT6_PKS5_21rocsparse_index_base_b ; -- Begin function _ZN9rocsparseL16sddmm_ell_kernelILi512ELi1E21rocsparse_complex_numIdEllS2_S2_S2_EEv20rocsparse_operation_S3_16rocsparse_order_S4_T3_S5_S5_T2_NS_24const_host_device_scalarIT1_EEPKT4_lPKT5_lS9_PT6_PKS5_21rocsparse_index_base_b
	.p2align	8
	.type	_ZN9rocsparseL16sddmm_ell_kernelILi512ELi1E21rocsparse_complex_numIdEllS2_S2_S2_EEv20rocsparse_operation_S3_16rocsparse_order_S4_T3_S5_S5_T2_NS_24const_host_device_scalarIT1_EEPKT4_lPKT5_lS9_PT6_PKS5_21rocsparse_index_base_b,@function
_ZN9rocsparseL16sddmm_ell_kernelILi512ELi1E21rocsparse_complex_numIdEllS2_S2_S2_EEv20rocsparse_operation_S3_16rocsparse_order_S4_T3_S5_S5_T2_NS_24const_host_device_scalarIT1_EEPKT4_lPKT5_lS9_PT6_PKS5_21rocsparse_index_base_b: ; @_ZN9rocsparseL16sddmm_ell_kernelILi512ELi1E21rocsparse_complex_numIdEllS2_S2_S2_EEv20rocsparse_operation_S3_16rocsparse_order_S4_T3_S5_S5_T2_NS_24const_host_device_scalarIT1_EEPKT4_lPKT5_lS9_PT6_PKS5_21rocsparse_index_base_b
; %bb.0:
	s_load_dwordx2 s[0:1], s[4:5], 0x30
	s_load_dwordx4 s[12:15], s[4:5], 0x58
	s_load_dwordx2 s[16:17], s[4:5], 0x80
	s_add_u32 s2, s4, 48
	s_addc_u32 s3, s5, 0
	s_add_u32 s7, s4, 0x60
	s_addc_u32 s8, s5, 0
	s_waitcnt lgkmcnt(0)
	s_bitcmp1_b32 s17, 0
	s_cselect_b32 s1, s3, s1
	s_cselect_b32 s0, s2, s0
	v_mov_b32_e32 v1, s0
	v_mov_b32_e32 v2, s1
	flat_load_dwordx4 v[1:4], v[1:2]
	s_cselect_b32 s0, s8, s15
	s_cselect_b32 s1, s7, s14
	v_mov_b32_e32 v5, s1
	v_mov_b32_e32 v6, s0
	flat_load_dwordx4 v[5:8], v[5:6]
	s_waitcnt vmcnt(0) lgkmcnt(0)
	v_cmp_eq_f64_e32 vcc, 0, v[1:2]
	v_cmp_eq_f64_e64 s[0:1], 0, v[3:4]
	s_and_b64 s[8:9], vcc, s[0:1]
	s_mov_b64 s[0:1], -1
	s_and_saveexec_b64 s[2:3], s[8:9]
	s_cbranch_execz .LBB59_2
; %bb.1:
	v_cmp_neq_f64_e32 vcc, 1.0, v[5:6]
	v_cmp_neq_f64_e64 s[0:1], 0, v[7:8]
	s_or_b64 s[0:1], vcc, s[0:1]
	s_orn2_b64 s[0:1], s[0:1], exec
.LBB59_2:
	s_or_b64 exec, exec, s[2:3]
	s_and_saveexec_b64 s[2:3], s[0:1]
	s_cbranch_execz .LBB59_30
; %bb.3:
	s_load_dwordx4 s[8:11], s[4:5], 0x20
	v_lshl_or_b32 v13, s6, 9, v0
	v_mov_b32_e32 v14, 0
	s_waitcnt lgkmcnt(0)
	v_cmp_gt_i64_e32 vcc, s[10:11], v[13:14]
	s_and_b64 exec, exec, vcc
	s_cbranch_execz .LBB59_30
; %bb.4:
	s_load_dwordx2 s[10:11], s[4:5], 0x10
	s_load_dwordx2 s[6:7], s[4:5], 0x78
	s_mov_b32 s0, 0
                                        ; implicit-def: $vgpr15_vgpr16
	s_waitcnt lgkmcnt(0)
	s_mov_b32 s1, s11
	s_cmp_lg_u64 s[0:1], 0
	s_cselect_b64 s[0:1], -1, 0
	s_and_saveexec_b64 s[2:3], s[0:1]
	s_xor_b64 s[14:15], exec, s[2:3]
	s_cbranch_execz .LBB59_6
; %bb.5:
	s_ashr_i32 s0, s11, 31
	s_add_u32 s2, s10, s0
	s_mov_b32 s1, s0
	s_addc_u32 s3, s11, s0
	s_xor_b64 s[18:19], s[2:3], s[0:1]
	v_cvt_f32_u32_e32 v9, s18
	v_cvt_f32_u32_e32 v10, s19
	s_sub_u32 s2, 0, s18
	s_subb_u32 s3, 0, s19
	v_add_co_u32_e32 v15, vcc, 0, v13
	v_madmk_f32 v9, v10, 0x4f800000, v9
	v_rcp_f32_e32 v9, v9
	v_mul_f32_e32 v9, 0x5f7ffffc, v9
	v_mul_f32_e32 v10, 0x2f800000, v9
	v_trunc_f32_e32 v10, v10
	v_madmk_f32 v9, v10, 0xcf800000, v9
	v_cvt_u32_f32_e32 v10, v10
	v_cvt_u32_f32_e32 v9, v9
	v_readfirstlane_b32 s11, v10
	v_readfirstlane_b32 s0, v9
	s_mul_i32 s1, s2, s11
	s_mul_hi_u32 s20, s2, s0
	s_mul_i32 s17, s3, s0
	s_add_i32 s1, s20, s1
	s_add_i32 s1, s1, s17
	s_mul_i32 s21, s2, s0
	s_mul_i32 s20, s0, s1
	s_mul_hi_u32 s22, s0, s21
	s_mul_hi_u32 s17, s0, s1
	s_add_u32 s20, s22, s20
	s_addc_u32 s17, 0, s17
	s_mul_hi_u32 s23, s11, s21
	s_mul_i32 s21, s11, s21
	s_add_u32 s20, s20, s21
	s_mul_hi_u32 s22, s11, s1
	s_addc_u32 s17, s17, s23
	s_addc_u32 s20, s22, 0
	s_mul_i32 s1, s11, s1
	s_add_u32 s1, s17, s1
	s_addc_u32 s17, 0, s20
	s_add_u32 s20, s0, s1
	s_cselect_b64 s[0:1], -1, 0
	s_cmp_lg_u64 s[0:1], 0
	s_addc_u32 s11, s11, s17
	s_mul_i32 s0, s2, s11
	s_mul_hi_u32 s1, s2, s20
	s_add_i32 s0, s1, s0
	s_mul_i32 s3, s3, s20
	s_add_i32 s0, s0, s3
	s_mul_i32 s2, s2, s20
	s_mul_hi_u32 s3, s11, s2
	s_mul_i32 s17, s11, s2
	s_mul_i32 s22, s20, s0
	s_mul_hi_u32 s2, s20, s2
	s_mul_hi_u32 s21, s20, s0
	s_add_u32 s2, s2, s22
	s_addc_u32 s21, 0, s21
	s_add_u32 s2, s2, s17
	s_mul_hi_u32 s1, s11, s0
	s_addc_u32 s2, s21, s3
	s_addc_u32 s1, s1, 0
	s_mul_i32 s0, s11, s0
	s_add_u32 s0, s2, s0
	s_addc_u32 s2, 0, s1
	s_add_u32 s3, s20, s0
	s_cselect_b64 s[0:1], -1, 0
	s_cmp_lg_u64 s[0:1], 0
	s_addc_u32 s2, s11, s2
	v_mad_u64_u32 v[9:10], s[0:1], v15, s2, 0
	v_mul_hi_u32 v11, v15, s3
	v_addc_co_u32_e64 v16, s[0:1], 0, 0, vcc
	v_add_co_u32_e32 v17, vcc, v11, v9
	v_addc_co_u32_e32 v18, vcc, 0, v10, vcc
	v_mad_u64_u32 v[9:10], s[0:1], v16, s3, 0
	v_mad_u64_u32 v[11:12], s[0:1], v16, s2, 0
	v_add_co_u32_e32 v9, vcc, v17, v9
	v_addc_co_u32_e32 v9, vcc, v18, v10, vcc
	v_addc_co_u32_e32 v10, vcc, 0, v12, vcc
	v_add_co_u32_e32 v9, vcc, v9, v11
	v_addc_co_u32_e32 v10, vcc, 0, v10, vcc
	v_mul_lo_u32 v11, s19, v9
	v_mul_lo_u32 v12, s18, v10
	v_mad_u64_u32 v[9:10], s[0:1], s18, v9, 0
	v_add3_u32 v10, v10, v12, v11
	v_sub_u32_e32 v11, v16, v10
	v_mov_b32_e32 v12, s19
	v_sub_co_u32_e32 v9, vcc, v15, v9
	v_subb_co_u32_e64 v11, s[0:1], v11, v12, vcc
	v_subrev_co_u32_e64 v15, s[0:1], s18, v9
	v_subbrev_co_u32_e64 v17, s[2:3], 0, v11, s[0:1]
	v_cmp_le_u32_e64 s[2:3], s19, v17
	v_cndmask_b32_e64 v18, 0, -1, s[2:3]
	v_cmp_le_u32_e64 s[2:3], s18, v15
	v_subb_co_u32_e64 v11, s[0:1], v11, v12, s[0:1]
	v_cndmask_b32_e64 v19, 0, -1, s[2:3]
	v_cmp_eq_u32_e64 s[2:3], s19, v17
	v_subrev_co_u32_e64 v12, s[0:1], s18, v15
	v_subb_co_u32_e32 v10, vcc, v16, v10, vcc
	v_cndmask_b32_e64 v18, v18, v19, s[2:3]
	v_subbrev_co_u32_e64 v11, s[0:1], 0, v11, s[0:1]
	v_cmp_le_u32_e32 vcc, s19, v10
	v_cmp_ne_u32_e64 s[0:1], 0, v18
	v_cndmask_b32_e64 v16, 0, -1, vcc
	v_cmp_le_u32_e32 vcc, s18, v9
	v_cndmask_b32_e64 v11, v17, v11, s[0:1]
	v_cndmask_b32_e64 v17, 0, -1, vcc
	v_cmp_eq_u32_e32 vcc, s19, v10
	v_cndmask_b32_e32 v16, v16, v17, vcc
	v_cmp_ne_u32_e32 vcc, 0, v16
	v_cndmask_b32_e32 v10, v10, v11, vcc
	v_cndmask_b32_e64 v11, v15, v12, s[0:1]
	v_cndmask_b32_e32 v9, v9, v11, vcc
	v_subrev_co_u32_e32 v15, vcc, 0, v9
	v_subbrev_co_u32_e32 v16, vcc, 0, v10, vcc
.LBB59_6:
	s_andn2_saveexec_b64 s[0:1], s[14:15]
	s_cbranch_execz .LBB59_8
; %bb.7:
	v_cvt_f32_u32_e32 v9, s10
	s_sub_i32 s2, 0, s10
	v_mov_b32_e32 v16, 0
	v_rcp_iflag_f32_e32 v9, v9
	v_mul_f32_e32 v9, 0x4f7ffffe, v9
	v_cvt_u32_f32_e32 v9, v9
	v_mul_lo_u32 v10, s2, v9
	v_mul_hi_u32 v10, v9, v10
	v_add_u32_e32 v9, v9, v10
	v_mul_hi_u32 v9, v13, v9
	v_mul_lo_u32 v9, v9, s10
	v_sub_u32_e32 v9, v13, v9
	v_subrev_u32_e32 v10, s10, v9
	v_cmp_le_u32_e32 vcc, s10, v9
	v_cndmask_b32_e32 v9, v9, v10, vcc
	v_subrev_u32_e32 v10, s10, v9
	v_cmp_le_u32_e32 vcc, s10, v9
	v_cndmask_b32_e32 v15, v9, v10, vcc
.LBB59_8:
	s_or_b64 exec, exec, s[0:1]
	v_lshlrev_b64 v[9:10], 3, v[13:14]
	v_mov_b32_e32 v11, s7
	v_add_co_u32_e32 v9, vcc, s6, v9
	v_addc_co_u32_e32 v10, vcc, v11, v10, vcc
	global_load_dwordx2 v[9:10], v[9:10], off
	s_mov_b64 s[18:19], -1
	s_waitcnt vmcnt(0)
	v_subrev_co_u32_e32 v9, vcc, s16, v9
	v_subbrev_co_u32_e32 v10, vcc, 0, v10, vcc
	v_cmp_lt_i64_e32 vcc, -1, v[9:10]
	s_and_b64 exec, exec, vcc
	s_cbranch_execz .LBB59_30
; %bb.9:
	s_load_dwordx4 s[0:3], s[4:5], 0x0
	s_load_dwordx2 s[6:7], s[4:5], 0x48
                                        ; implicit-def: $vgpr11_vgpr12
	s_waitcnt lgkmcnt(0)
	s_cmp_eq_u32 s2, 1
	s_cselect_b64 s[10:11], -1, 0
	s_cmpk_eq_i32 s0, 0x6f
	s_cselect_b64 s[14:15], -1, 0
	s_cmpk_lg_i32 s0, 0x6f
	s_cselect_b64 s[16:17], -1, 0
	s_cmp_lg_u32 s2, 1
	s_cbranch_scc0 .LBB59_13
; %bb.10:
	v_mov_b32_e32 v11, v15
	s_andn2_b64 vcc, exec, s[14:15]
	v_mov_b32_e32 v12, v16
	s_cbranch_vccnz .LBB59_12
; %bb.11:
	v_mul_lo_u32 v17, v16, s6
	v_mul_lo_u32 v18, v15, s7
	v_mad_u64_u32 v[11:12], s[18:19], v15, s6, 0
	v_add3_u32 v12, v12, v18, v17
.LBB59_12:
	s_mov_b64 s[18:19], 0
.LBB59_13:
	s_andn2_b64 vcc, exec, s[18:19]
	s_cbranch_vccnz .LBB59_17
; %bb.14:
	s_andn2_b64 vcc, exec, s[16:17]
	s_cbranch_vccnz .LBB59_16
; %bb.15:
	v_mul_lo_u32 v11, v16, s6
	v_mul_lo_u32 v12, v15, s7
	v_mad_u64_u32 v[15:16], s[16:17], v15, s6, 0
	v_add3_u32 v16, v16, v12, v11
.LBB59_16:
	v_mov_b32_e32 v11, v15
	v_mov_b32_e32 v12, v16
.LBB59_17:
	s_cmp_eq_u32 s3, 1
	s_cselect_b64 s[16:17], -1, 0
	s_cmpk_eq_i32 s1, 0x6f
	s_cselect_b64 s[18:19], -1, 0
	s_cmpk_lg_i32 s1, 0x6f
	s_cselect_b64 s[0:1], -1, 0
	s_cmp_lg_u32 s3, 1
	s_cbranch_scc0 .LBB59_21
; %bb.18:
	v_mov_b32_e32 v16, v10
	s_andn2_b64 vcc, exec, s[0:1]
	v_mov_b32_e32 v15, v9
	s_cbranch_vccnz .LBB59_20
; %bb.19:
	v_mul_lo_u32 v17, v10, s12
	v_mul_lo_u32 v18, v9, s13
	v_mad_u64_u32 v[15:16], s[0:1], v9, s12, 0
	v_add3_u32 v16, v16, v18, v17
.LBB59_20:
	s_cbranch_execz .LBB59_22
	s_branch .LBB59_25
.LBB59_21:
                                        ; implicit-def: $vgpr15_vgpr16
.LBB59_22:
	s_andn2_b64 vcc, exec, s[18:19]
	s_cbranch_vccnz .LBB59_24
; %bb.23:
	v_mul_lo_u32 v15, v10, s12
	v_mul_lo_u32 v16, v9, s13
	v_mad_u64_u32 v[9:10], s[0:1], v9, s12, 0
	v_add3_u32 v10, v10, v16, v15
.LBB59_24:
	v_mov_b32_e32 v16, v10
	v_mov_b32_e32 v15, v9
.LBB59_25:
	s_load_dwordx2 s[2:3], s[4:5], 0x70
	v_cmp_lt_i64_e64 s[0:1], s[8:9], 1
	s_and_b64 vcc, exec, s[0:1]
	s_cbranch_vccnz .LBB59_28
; %bb.26:
	s_load_dwordx2 s[0:1], s[4:5], 0x40
	s_load_dwordx2 s[20:21], s[4:5], 0x50
	v_lshlrev_b64 v[9:10], 4, v[15:16]
	s_xor_b64 s[4:5], s[14:15], s[10:11]
	s_and_b64 s[4:5], s[4:5], exec
	s_cselect_b32 s7, 0, s7
	s_waitcnt lgkmcnt(0)
	v_mov_b32_e32 v15, s21
	v_add_co_u32_e32 v9, vcc, s20, v9
	v_addc_co_u32_e32 v10, vcc, v15, v10, vcc
	v_add_co_u32_e32 v15, vcc, 8, v9
	v_addc_co_u32_e32 v16, vcc, 0, v10, vcc
	v_lshlrev_b64 v[9:10], 4, v[11:12]
	s_cselect_b32 s6, 1, s6
	s_xor_b64 s[4:5], s[18:19], s[16:17]
	v_mov_b32_e32 v11, s1
	v_add_co_u32_e32 v9, vcc, s0, v9
	s_and_b64 s[4:5], s[4:5], exec
	v_addc_co_u32_e32 v10, vcc, v11, v10, vcc
	s_cselect_b32 s5, s13, 0
	s_cselect_b32 s4, s12, 1
	v_add_co_u32_e32 v17, vcc, 8, v9
	s_lshl_b64 s[4:5], s[4:5], 4
	v_addc_co_u32_e32 v18, vcc, 0, v10, vcc
	s_lshl_b64 s[6:7], s[6:7], 4
	v_mov_b32_e32 v11, 0
	v_mov_b32_e32 v9, 0
	;; [unrolled: 1-line block ×6, first 2 shown]
.LBB59_27:                              ; =>This Inner Loop Header: Depth=1
	global_load_dwordx4 v[21:24], v[15:16], off offset:-8
	global_load_dwordx4 v[25:28], v[17:18], off offset:-8
	s_add_u32 s8, s8, -1
	v_add_co_u32_e32 v17, vcc, s6, v17
	v_add_co_u32_e64 v15, s[0:1], s4, v15
	s_addc_u32 s9, s9, -1
	v_addc_co_u32_e64 v16, s[0:1], v16, v19, s[0:1]
	s_cmp_eq_u64 s[8:9], 0
	v_addc_co_u32_e32 v18, vcc, v18, v20, vcc
	s_waitcnt vmcnt(0)
	v_mul_f64 v[29:30], v[23:24], -v[27:28]
	v_mul_f64 v[23:24], v[23:24], v[25:26]
	v_fma_f64 v[25:26], v[25:26], v[21:22], v[29:30]
	v_fma_f64 v[21:22], v[27:28], v[21:22], v[23:24]
	v_add_f64 v[9:10], v[9:10], v[25:26]
	v_add_f64 v[11:12], v[11:12], v[21:22]
	s_cbranch_scc0 .LBB59_27
	s_branch .LBB59_29
.LBB59_28:
	v_mov_b32_e32 v11, 0
	v_mov_b32_e32 v9, 0
	;; [unrolled: 1-line block ×4, first 2 shown]
.LBB59_29:
	v_lshlrev_b32_e32 v0, 4, v0
	ds_write_b128 v0, v[9:12]
	v_lshlrev_b64 v[9:10], 4, v[13:14]
	s_waitcnt lgkmcnt(0)
	v_mov_b32_e32 v11, s3
	v_add_co_u32_e32 v17, vcc, s2, v9
	v_addc_co_u32_e32 v18, vcc, v11, v10, vcc
	s_barrier
	global_load_dwordx4 v[9:12], v[17:18], off
	ds_read_b128 v[13:16], v0
	s_waitcnt lgkmcnt(0)
	v_mul_f64 v[19:20], v[15:16], -v[3:4]
	v_mul_f64 v[15:16], v[1:2], v[15:16]
	v_fma_f64 v[0:1], v[1:2], v[13:14], v[19:20]
	v_fma_f64 v[2:3], v[3:4], v[13:14], v[15:16]
	s_waitcnt vmcnt(0)
	v_mul_f64 v[21:22], v[7:8], -v[11:12]
	v_mul_f64 v[7:8], v[7:8], v[9:10]
	v_fma_f64 v[9:10], v[9:10], v[5:6], v[21:22]
	v_fma_f64 v[4:5], v[11:12], v[5:6], v[7:8]
	v_add_f64 v[0:1], v[9:10], v[0:1]
	v_add_f64 v[2:3], v[4:5], v[2:3]
	global_store_dwordx4 v[17:18], v[0:3], off
.LBB59_30:
	s_endpgm
	.section	.rodata,"a",@progbits
	.p2align	6, 0x0
	.amdhsa_kernel _ZN9rocsparseL16sddmm_ell_kernelILi512ELi1E21rocsparse_complex_numIdEllS2_S2_S2_EEv20rocsparse_operation_S3_16rocsparse_order_S4_T3_S5_S5_T2_NS_24const_host_device_scalarIT1_EEPKT4_lPKT5_lS9_PT6_PKS5_21rocsparse_index_base_b
		.amdhsa_group_segment_fixed_size 8192
		.amdhsa_private_segment_fixed_size 0
		.amdhsa_kernarg_size 136
		.amdhsa_user_sgpr_count 6
		.amdhsa_user_sgpr_private_segment_buffer 1
		.amdhsa_user_sgpr_dispatch_ptr 0
		.amdhsa_user_sgpr_queue_ptr 0
		.amdhsa_user_sgpr_kernarg_segment_ptr 1
		.amdhsa_user_sgpr_dispatch_id 0
		.amdhsa_user_sgpr_flat_scratch_init 0
		.amdhsa_user_sgpr_private_segment_size 0
		.amdhsa_uses_dynamic_stack 0
		.amdhsa_system_sgpr_private_segment_wavefront_offset 0
		.amdhsa_system_sgpr_workgroup_id_x 1
		.amdhsa_system_sgpr_workgroup_id_y 0
		.amdhsa_system_sgpr_workgroup_id_z 0
		.amdhsa_system_sgpr_workgroup_info 0
		.amdhsa_system_vgpr_workitem_id 0
		.amdhsa_next_free_vgpr 31
		.amdhsa_next_free_sgpr 24
		.amdhsa_reserve_vcc 1
		.amdhsa_reserve_flat_scratch 0
		.amdhsa_float_round_mode_32 0
		.amdhsa_float_round_mode_16_64 0
		.amdhsa_float_denorm_mode_32 3
		.amdhsa_float_denorm_mode_16_64 3
		.amdhsa_dx10_clamp 1
		.amdhsa_ieee_mode 1
		.amdhsa_fp16_overflow 0
		.amdhsa_exception_fp_ieee_invalid_op 0
		.amdhsa_exception_fp_denorm_src 0
		.amdhsa_exception_fp_ieee_div_zero 0
		.amdhsa_exception_fp_ieee_overflow 0
		.amdhsa_exception_fp_ieee_underflow 0
		.amdhsa_exception_fp_ieee_inexact 0
		.amdhsa_exception_int_div_zero 0
	.end_amdhsa_kernel
	.section	.text._ZN9rocsparseL16sddmm_ell_kernelILi512ELi1E21rocsparse_complex_numIdEllS2_S2_S2_EEv20rocsparse_operation_S3_16rocsparse_order_S4_T3_S5_S5_T2_NS_24const_host_device_scalarIT1_EEPKT4_lPKT5_lS9_PT6_PKS5_21rocsparse_index_base_b,"axG",@progbits,_ZN9rocsparseL16sddmm_ell_kernelILi512ELi1E21rocsparse_complex_numIdEllS2_S2_S2_EEv20rocsparse_operation_S3_16rocsparse_order_S4_T3_S5_S5_T2_NS_24const_host_device_scalarIT1_EEPKT4_lPKT5_lS9_PT6_PKS5_21rocsparse_index_base_b,comdat
.Lfunc_end59:
	.size	_ZN9rocsparseL16sddmm_ell_kernelILi512ELi1E21rocsparse_complex_numIdEllS2_S2_S2_EEv20rocsparse_operation_S3_16rocsparse_order_S4_T3_S5_S5_T2_NS_24const_host_device_scalarIT1_EEPKT4_lPKT5_lS9_PT6_PKS5_21rocsparse_index_base_b, .Lfunc_end59-_ZN9rocsparseL16sddmm_ell_kernelILi512ELi1E21rocsparse_complex_numIdEllS2_S2_S2_EEv20rocsparse_operation_S3_16rocsparse_order_S4_T3_S5_S5_T2_NS_24const_host_device_scalarIT1_EEPKT4_lPKT5_lS9_PT6_PKS5_21rocsparse_index_base_b
                                        ; -- End function
	.set _ZN9rocsparseL16sddmm_ell_kernelILi512ELi1E21rocsparse_complex_numIdEllS2_S2_S2_EEv20rocsparse_operation_S3_16rocsparse_order_S4_T3_S5_S5_T2_NS_24const_host_device_scalarIT1_EEPKT4_lPKT5_lS9_PT6_PKS5_21rocsparse_index_base_b.num_vgpr, 31
	.set _ZN9rocsparseL16sddmm_ell_kernelILi512ELi1E21rocsparse_complex_numIdEllS2_S2_S2_EEv20rocsparse_operation_S3_16rocsparse_order_S4_T3_S5_S5_T2_NS_24const_host_device_scalarIT1_EEPKT4_lPKT5_lS9_PT6_PKS5_21rocsparse_index_base_b.num_agpr, 0
	.set _ZN9rocsparseL16sddmm_ell_kernelILi512ELi1E21rocsparse_complex_numIdEllS2_S2_S2_EEv20rocsparse_operation_S3_16rocsparse_order_S4_T3_S5_S5_T2_NS_24const_host_device_scalarIT1_EEPKT4_lPKT5_lS9_PT6_PKS5_21rocsparse_index_base_b.numbered_sgpr, 24
	.set _ZN9rocsparseL16sddmm_ell_kernelILi512ELi1E21rocsparse_complex_numIdEllS2_S2_S2_EEv20rocsparse_operation_S3_16rocsparse_order_S4_T3_S5_S5_T2_NS_24const_host_device_scalarIT1_EEPKT4_lPKT5_lS9_PT6_PKS5_21rocsparse_index_base_b.num_named_barrier, 0
	.set _ZN9rocsparseL16sddmm_ell_kernelILi512ELi1E21rocsparse_complex_numIdEllS2_S2_S2_EEv20rocsparse_operation_S3_16rocsparse_order_S4_T3_S5_S5_T2_NS_24const_host_device_scalarIT1_EEPKT4_lPKT5_lS9_PT6_PKS5_21rocsparse_index_base_b.private_seg_size, 0
	.set _ZN9rocsparseL16sddmm_ell_kernelILi512ELi1E21rocsparse_complex_numIdEllS2_S2_S2_EEv20rocsparse_operation_S3_16rocsparse_order_S4_T3_S5_S5_T2_NS_24const_host_device_scalarIT1_EEPKT4_lPKT5_lS9_PT6_PKS5_21rocsparse_index_base_b.uses_vcc, 1
	.set _ZN9rocsparseL16sddmm_ell_kernelILi512ELi1E21rocsparse_complex_numIdEllS2_S2_S2_EEv20rocsparse_operation_S3_16rocsparse_order_S4_T3_S5_S5_T2_NS_24const_host_device_scalarIT1_EEPKT4_lPKT5_lS9_PT6_PKS5_21rocsparse_index_base_b.uses_flat_scratch, 0
	.set _ZN9rocsparseL16sddmm_ell_kernelILi512ELi1E21rocsparse_complex_numIdEllS2_S2_S2_EEv20rocsparse_operation_S3_16rocsparse_order_S4_T3_S5_S5_T2_NS_24const_host_device_scalarIT1_EEPKT4_lPKT5_lS9_PT6_PKS5_21rocsparse_index_base_b.has_dyn_sized_stack, 0
	.set _ZN9rocsparseL16sddmm_ell_kernelILi512ELi1E21rocsparse_complex_numIdEllS2_S2_S2_EEv20rocsparse_operation_S3_16rocsparse_order_S4_T3_S5_S5_T2_NS_24const_host_device_scalarIT1_EEPKT4_lPKT5_lS9_PT6_PKS5_21rocsparse_index_base_b.has_recursion, 0
	.set _ZN9rocsparseL16sddmm_ell_kernelILi512ELi1E21rocsparse_complex_numIdEllS2_S2_S2_EEv20rocsparse_operation_S3_16rocsparse_order_S4_T3_S5_S5_T2_NS_24const_host_device_scalarIT1_EEPKT4_lPKT5_lS9_PT6_PKS5_21rocsparse_index_base_b.has_indirect_call, 0
	.section	.AMDGPU.csdata,"",@progbits
; Kernel info:
; codeLenInByte = 1736
; TotalNumSgprs: 28
; NumVgprs: 31
; ScratchSize: 0
; MemoryBound: 0
; FloatMode: 240
; IeeeMode: 1
; LDSByteSize: 8192 bytes/workgroup (compile time only)
; SGPRBlocks: 3
; VGPRBlocks: 7
; NumSGPRsForWavesPerEU: 28
; NumVGPRsForWavesPerEU: 31
; Occupancy: 8
; WaveLimiterHint : 1
; COMPUTE_PGM_RSRC2:SCRATCH_EN: 0
; COMPUTE_PGM_RSRC2:USER_SGPR: 6
; COMPUTE_PGM_RSRC2:TRAP_HANDLER: 0
; COMPUTE_PGM_RSRC2:TGID_X_EN: 1
; COMPUTE_PGM_RSRC2:TGID_Y_EN: 0
; COMPUTE_PGM_RSRC2:TGID_Z_EN: 0
; COMPUTE_PGM_RSRC2:TIDIG_COMP_CNT: 0
	.section	.text._ZN9rocsparseL16sddmm_ell_kernelILi512ELi8EfiiDF16_DF16_fEEv20rocsparse_operation_S1_16rocsparse_order_S2_T3_S3_S3_T2_NS_24const_host_device_scalarIT1_EEPKT4_lPKT5_lS7_PT6_PKS3_21rocsparse_index_base_b,"axG",@progbits,_ZN9rocsparseL16sddmm_ell_kernelILi512ELi8EfiiDF16_DF16_fEEv20rocsparse_operation_S1_16rocsparse_order_S2_T3_S3_S3_T2_NS_24const_host_device_scalarIT1_EEPKT4_lPKT5_lS7_PT6_PKS3_21rocsparse_index_base_b,comdat
	.globl	_ZN9rocsparseL16sddmm_ell_kernelILi512ELi8EfiiDF16_DF16_fEEv20rocsparse_operation_S1_16rocsparse_order_S2_T3_S3_S3_T2_NS_24const_host_device_scalarIT1_EEPKT4_lPKT5_lS7_PT6_PKS3_21rocsparse_index_base_b ; -- Begin function _ZN9rocsparseL16sddmm_ell_kernelILi512ELi8EfiiDF16_DF16_fEEv20rocsparse_operation_S1_16rocsparse_order_S2_T3_S3_S3_T2_NS_24const_host_device_scalarIT1_EEPKT4_lPKT5_lS7_PT6_PKS3_21rocsparse_index_base_b
	.p2align	8
	.type	_ZN9rocsparseL16sddmm_ell_kernelILi512ELi8EfiiDF16_DF16_fEEv20rocsparse_operation_S1_16rocsparse_order_S2_T3_S3_S3_T2_NS_24const_host_device_scalarIT1_EEPKT4_lPKT5_lS7_PT6_PKS3_21rocsparse_index_base_b,@function
_ZN9rocsparseL16sddmm_ell_kernelILi512ELi8EfiiDF16_DF16_fEEv20rocsparse_operation_S1_16rocsparse_order_S2_T3_S3_S3_T2_NS_24const_host_device_scalarIT1_EEPKT4_lPKT5_lS7_PT6_PKS3_21rocsparse_index_base_b: ; @_ZN9rocsparseL16sddmm_ell_kernelILi512ELi8EfiiDF16_DF16_fEEv20rocsparse_operation_S1_16rocsparse_order_S2_T3_S3_S3_T2_NS_24const_host_device_scalarIT1_EEPKT4_lPKT5_lS7_PT6_PKS3_21rocsparse_index_base_b
; %bb.0:
	s_load_dwordx2 s[8:9], s[4:5], 0x60
	s_load_dwordx2 s[12:13], s[4:5], 0x20
	s_load_dwordx4 s[0:3], s[4:5], 0x40
	s_waitcnt lgkmcnt(0)
	s_bitcmp1_b32 s9, 0
	s_cselect_b64 s[14:15], -1, 0
	s_xor_b64 s[10:11], s[14:15], -1
	s_and_b64 vcc, exec, s[14:15]
	s_cbranch_vccnz .LBB60_2
; %bb.1:
	s_load_dword s12, s[12:13], 0x0
.LBB60_2:
	s_andn2_b64 vcc, exec, s[10:11]
	s_cbranch_vccnz .LBB60_4
; %bb.3:
	s_load_dword s2, s[2:3], 0x0
.LBB60_4:
	s_waitcnt lgkmcnt(0)
	v_cmp_eq_f32_e64 s[10:11], s12, 0
	v_cmp_eq_f32_e64 s[14:15], s2, 1.0
	s_and_b64 s[10:11], s[10:11], s[14:15]
	s_and_b64 vcc, exec, s[10:11]
	s_cbranch_vccnz .LBB60_35
; %bb.5:
	s_load_dwordx2 s[14:15], s[4:5], 0x18
	v_lshrrev_b32_e32 v9, 3, v0
	v_lshl_or_b32 v4, s6, 6, v9
	s_waitcnt lgkmcnt(0)
	v_cmp_gt_i32_e32 vcc, s15, v4
	s_and_saveexec_b64 s[6:7], vcc
	s_cbranch_execz .LBB60_35
; %bb.6:
	s_load_dwordx2 s[6:7], s[4:5], 0x58
	v_ashrrev_i32_e32 v5, 31, v4
	v_lshlrev_b64 v[1:2], 2, v[4:5]
	s_waitcnt lgkmcnt(0)
	v_mov_b32_e32 v3, s7
	v_add_co_u32_e32 v6, vcc, s6, v1
	v_addc_co_u32_e32 v7, vcc, v3, v2, vcc
	global_load_dword v3, v[6:7], off
	s_waitcnt vmcnt(0)
	v_subrev_u32_e32 v3, s8, v3
	v_cmp_lt_i32_e32 vcc, -1, v3
	s_and_b64 exec, exec, vcc
	s_cbranch_execz .LBB60_35
; %bb.7:
	s_load_dwordx4 s[8:11], s[4:5], 0x0
	s_load_dword s3, s[4:5], 0x10
	v_sub_u32_e32 v8, 0, v4
	v_max_i32_e32 v4, v4, v8
	s_load_dwordx2 s[20:21], s[4:5], 0x30
	s_waitcnt lgkmcnt(0)
	s_cmp_eq_u32 s10, 1
	s_cselect_b64 s[16:17], -1, 0
	s_cmpk_eq_i32 s8, 0x6f
	s_cselect_b64 s[18:19], -1, 0
	s_cmpk_lg_i32 s8, 0x6f
	s_cselect_b64 s[6:7], -1, 0
	s_abs_i32 s3, s3
	v_cvt_f32_u32_e32 v6, s3
	s_sub_i32 s8, 0, s3
	s_cmp_lg_u32 s10, 1
	v_rcp_iflag_f32_e32 v6, v6
	v_mul_f32_e32 v6, 0x4f7ffffe, v6
	v_cvt_u32_f32_e32 v6, v6
	v_mul_lo_u32 v7, s8, v6
	v_mul_hi_u32 v7, v6, v7
	v_add_u32_e32 v6, v6, v7
	v_mul_hi_u32 v6, v4, v6
	v_mul_lo_u32 v6, v6, s3
	v_sub_u32_e32 v4, v4, v6
	v_subrev_u32_e32 v6, s3, v4
	v_cmp_le_u32_e32 vcc, s3, v4
	v_cndmask_b32_e32 v4, v4, v6, vcc
	v_subrev_u32_e32 v6, s3, v4
	v_cmp_le_u32_e32 vcc, s3, v4
	v_cndmask_b32_e32 v4, v4, v6, vcc
	v_xor_b32_e32 v4, v4, v5
	v_sub_u32_e32 v7, v4, v5
	v_ashrrev_i32_e32 v8, 31, v7
	s_cbranch_scc0 .LBB60_11
; %bb.8:
	v_mov_b32_e32 v5, v7
	s_andn2_b64 vcc, exec, s[18:19]
	v_mov_b32_e32 v6, v8
	s_cbranch_vccnz .LBB60_10
; %bb.9:
	v_mul_lo_u32 v4, s21, v7
	v_mul_lo_u32 v10, s20, v8
	v_mad_u64_u32 v[5:6], s[22:23], s20, v7, 0
	v_add3_u32 v6, v6, v10, v4
.LBB60_10:
	s_cbranch_execz .LBB60_12
	s_branch .LBB60_15
.LBB60_11:
                                        ; implicit-def: $vgpr5_vgpr6
.LBB60_12:
	s_andn2_b64 vcc, exec, s[6:7]
	s_cbranch_vccnz .LBB60_14
; %bb.13:
	v_mul_lo_u32 v4, s21, v7
	v_mul_lo_u32 v5, s20, v8
	v_mad_u64_u32 v[7:8], s[6:7], s20, v7, 0
	v_add3_u32 v8, v8, v5, v4
.LBB60_14:
	v_mov_b32_e32 v5, v7
	v_mov_b32_e32 v6, v8
.LBB60_15:
	s_cmp_eq_u32 s11, 1
	s_cselect_b64 s[22:23], -1, 0
	s_cmpk_eq_i32 s9, 0x6f
	s_cselect_b64 s[24:25], -1, 0
	s_cmpk_lg_i32 s9, 0x6f
	s_cselect_b64 s[6:7], -1, 0
	s_cmp_lg_u32 s11, 1
	v_mov_b32_e32 v4, 0
	s_cbranch_scc0 .LBB60_19
; %bb.16:
	v_mov_b32_e32 v8, v4
	s_andn2_b64 vcc, exec, s[6:7]
	v_mov_b32_e32 v7, v3
	s_cbranch_vccnz .LBB60_18
; %bb.17:
	v_mad_u64_u32 v[7:8], s[6:7], s0, v3, 0
	v_mad_u64_u32 v[10:11], s[6:7], s1, v3, v[8:9]
	v_mov_b32_e32 v8, v10
.LBB60_18:
	s_cbranch_execz .LBB60_20
	s_branch .LBB60_23
.LBB60_19:
                                        ; implicit-def: $vgpr7_vgpr8
.LBB60_20:
	s_andn2_b64 vcc, exec, s[24:25]
	s_cbranch_vccnz .LBB60_22
; %bb.21:
	v_mad_u64_u32 v[7:8], s[6:7], s0, v3, 0
	v_mov_b32_e32 v4, v8
	v_mad_u64_u32 v[3:4], s[6:7], s1, v3, v[4:5]
	v_mov_b32_e32 v8, v3
	v_mov_b32_e32 v3, v7
	;; [unrolled: 1-line block ×3, first 2 shown]
.LBB60_22:
	v_mov_b32_e32 v8, v4
	v_mov_b32_e32 v7, v3
.LBB60_23:
	s_load_dwordx2 s[6:7], s[4:5], 0x50
	v_and_b32_e32 v10, 7, v0
	v_cmp_gt_i32_e32 vcc, s14, v10
	v_mov_b32_e32 v11, 0
	s_and_saveexec_b64 s[8:9], vcc
	s_cbranch_execz .LBB60_27
; %bb.24:
	s_xor_b64 s[10:11], s[18:19], s[16:17]
	s_and_b64 s[10:11], s[10:11], exec
	s_cselect_b32 s10, 1, s20
	v_and_b32_e32 v13, 7, v0
	v_mad_u64_u32 v[3:4], s[16:17], s10, v13, 0
	s_cselect_b32 s11, 0, s21
	s_load_dwordx2 s[16:17], s[4:5], 0x28
	s_load_dwordx2 s[18:19], s[4:5], 0x38
	v_mov_b32_e32 v0, v4
	v_mad_u64_u32 v[11:12], s[20:21], s11, v13, v[0:1]
	s_xor_b64 s[4:5], s[24:25], s[22:23]
	s_and_b64 s[4:5], s[4:5], exec
	s_cselect_b32 s4, s0, 1
	s_cselect_b32 s5, s1, 0
	v_mov_b32_e32 v4, v11
	v_mad_u64_u32 v[11:12], s[0:1], s4, v13, 0
	v_lshlrev_b64 v[3:4], 1, v[3:4]
	v_lshlrev_b64 v[5:6], 1, v[5:6]
	v_mov_b32_e32 v0, v12
	v_add_co_u32_e32 v3, vcc, v3, v5
	v_addc_co_u32_e32 v4, vcc, v4, v6, vcc
	v_mad_u64_u32 v[5:6], s[0:1], s5, v13, v[0:1]
	s_waitcnt lgkmcnt(0)
	v_mov_b32_e32 v14, s17
	v_add_co_u32_e32 v3, vcc, s16, v3
	v_mov_b32_e32 v12, v5
	v_lshlrev_b64 v[5:6], 1, v[11:12]
	v_lshlrev_b64 v[7:8], 1, v[7:8]
	v_addc_co_u32_e32 v4, vcc, v14, v4, vcc
	v_add_co_u32_e32 v0, vcc, v5, v7
	v_addc_co_u32_e32 v6, vcc, v6, v8, vcc
	s_lshl_b64 s[0:1], s[10:11], 4
	v_mov_b32_e32 v7, s19
	v_add_co_u32_e32 v5, vcc, s18, v0
	s_lshl_b64 s[4:5], s[4:5], 4
	v_addc_co_u32_e32 v6, vcc, v7, v6, vcc
	v_mov_b32_e32 v11, 0
	s_mov_b64 s[10:11], 0
	v_mov_b32_e32 v0, s1
	v_mov_b32_e32 v7, s5
	;; [unrolled: 1-line block ×3, first 2 shown]
.LBB60_25:                              ; =>This Inner Loop Header: Depth=1
	global_load_ushort v12, v[3:4], off
	global_load_ushort v13, v[5:6], off
	v_add_co_u32_e32 v3, vcc, s0, v3
	v_addc_co_u32_e32 v4, vcc, v4, v0, vcc
	v_add_co_u32_e32 v5, vcc, s4, v5
	v_add_u32_e32 v8, 8, v8
	v_addc_co_u32_e32 v6, vcc, v6, v7, vcc
	v_cmp_le_i32_e32 vcc, s14, v8
	s_or_b64 s[10:11], vcc, s[10:11]
	s_waitcnt vmcnt(0)
	v_mul_f16_e32 v12, v12, v13
	v_cvt_f32_f16_e32 v12, v12
	v_add_f32_e32 v11, v11, v12
	s_andn2_b64 exec, exec, s[10:11]
	s_cbranch_execnz .LBB60_25
; %bb.26:
	s_or_b64 exec, exec, s[10:11]
.LBB60_27:
	s_or_b64 exec, exec, s[8:9]
	v_lshlrev_b32_e32 v0, 5, v9
	v_lshl_or_b32 v3, v10, 2, v0
	v_cmp_gt_u32_e32 vcc, 4, v10
	ds_write_b32 v3, v11
	s_waitcnt lgkmcnt(0)
	s_barrier
	s_and_saveexec_b64 s[0:1], vcc
	s_cbranch_execz .LBB60_29
; %bb.28:
	ds_read2_b32 v[4:5], v3 offset1:4
	s_waitcnt lgkmcnt(0)
	v_add_f32_e32 v4, v5, v4
	ds_write_b32 v3, v4
.LBB60_29:
	s_or_b64 exec, exec, s[0:1]
	v_cmp_gt_u32_e32 vcc, 2, v10
	s_waitcnt lgkmcnt(0)
	s_barrier
	s_and_saveexec_b64 s[0:1], vcc
	s_cbranch_execz .LBB60_31
; %bb.30:
	ds_read2_b32 v[4:5], v3 offset1:2
	s_waitcnt lgkmcnt(0)
	v_add_f32_e32 v4, v5, v4
	ds_write_b32 v3, v4
.LBB60_31:
	s_or_b64 exec, exec, s[0:1]
	v_cmp_eq_u32_e32 vcc, 0, v10
	s_waitcnt lgkmcnt(0)
	s_barrier
	s_and_saveexec_b64 s[0:1], vcc
	s_cbranch_execz .LBB60_33
; %bb.32:
	ds_read2_b32 v[4:5], v3 offset1:1
	s_waitcnt lgkmcnt(0)
	v_add_f32_e32 v4, v5, v4
	ds_write_b32 v3, v4
.LBB60_33:
	s_or_b64 exec, exec, s[0:1]
	s_waitcnt lgkmcnt(0)
	s_barrier
	s_and_b64 exec, exec, vcc
	s_cbranch_execz .LBB60_35
; %bb.34:
	v_mov_b32_e32 v3, s7
	v_add_co_u32_e32 v1, vcc, s6, v1
	v_addc_co_u32_e32 v2, vcc, v3, v2, vcc
	global_load_dword v3, v[1:2], off
	ds_read_b32 v0, v0
	s_waitcnt lgkmcnt(0)
	v_mul_f32_e32 v0, s12, v0
	s_waitcnt vmcnt(0)
	v_fmac_f32_e32 v0, s2, v3
	global_store_dword v[1:2], v0, off
.LBB60_35:
	s_endpgm
	.section	.rodata,"a",@progbits
	.p2align	6, 0x0
	.amdhsa_kernel _ZN9rocsparseL16sddmm_ell_kernelILi512ELi8EfiiDF16_DF16_fEEv20rocsparse_operation_S1_16rocsparse_order_S2_T3_S3_S3_T2_NS_24const_host_device_scalarIT1_EEPKT4_lPKT5_lS7_PT6_PKS3_21rocsparse_index_base_b
		.amdhsa_group_segment_fixed_size 2048
		.amdhsa_private_segment_fixed_size 0
		.amdhsa_kernarg_size 104
		.amdhsa_user_sgpr_count 6
		.amdhsa_user_sgpr_private_segment_buffer 1
		.amdhsa_user_sgpr_dispatch_ptr 0
		.amdhsa_user_sgpr_queue_ptr 0
		.amdhsa_user_sgpr_kernarg_segment_ptr 1
		.amdhsa_user_sgpr_dispatch_id 0
		.amdhsa_user_sgpr_flat_scratch_init 0
		.amdhsa_user_sgpr_private_segment_size 0
		.amdhsa_uses_dynamic_stack 0
		.amdhsa_system_sgpr_private_segment_wavefront_offset 0
		.amdhsa_system_sgpr_workgroup_id_x 1
		.amdhsa_system_sgpr_workgroup_id_y 0
		.amdhsa_system_sgpr_workgroup_id_z 0
		.amdhsa_system_sgpr_workgroup_info 0
		.amdhsa_system_vgpr_workitem_id 0
		.amdhsa_next_free_vgpr 15
		.amdhsa_next_free_sgpr 26
		.amdhsa_reserve_vcc 1
		.amdhsa_reserve_flat_scratch 0
		.amdhsa_float_round_mode_32 0
		.amdhsa_float_round_mode_16_64 0
		.amdhsa_float_denorm_mode_32 3
		.amdhsa_float_denorm_mode_16_64 3
		.amdhsa_dx10_clamp 1
		.amdhsa_ieee_mode 1
		.amdhsa_fp16_overflow 0
		.amdhsa_exception_fp_ieee_invalid_op 0
		.amdhsa_exception_fp_denorm_src 0
		.amdhsa_exception_fp_ieee_div_zero 0
		.amdhsa_exception_fp_ieee_overflow 0
		.amdhsa_exception_fp_ieee_underflow 0
		.amdhsa_exception_fp_ieee_inexact 0
		.amdhsa_exception_int_div_zero 0
	.end_amdhsa_kernel
	.section	.text._ZN9rocsparseL16sddmm_ell_kernelILi512ELi8EfiiDF16_DF16_fEEv20rocsparse_operation_S1_16rocsparse_order_S2_T3_S3_S3_T2_NS_24const_host_device_scalarIT1_EEPKT4_lPKT5_lS7_PT6_PKS3_21rocsparse_index_base_b,"axG",@progbits,_ZN9rocsparseL16sddmm_ell_kernelILi512ELi8EfiiDF16_DF16_fEEv20rocsparse_operation_S1_16rocsparse_order_S2_T3_S3_S3_T2_NS_24const_host_device_scalarIT1_EEPKT4_lPKT5_lS7_PT6_PKS3_21rocsparse_index_base_b,comdat
.Lfunc_end60:
	.size	_ZN9rocsparseL16sddmm_ell_kernelILi512ELi8EfiiDF16_DF16_fEEv20rocsparse_operation_S1_16rocsparse_order_S2_T3_S3_S3_T2_NS_24const_host_device_scalarIT1_EEPKT4_lPKT5_lS7_PT6_PKS3_21rocsparse_index_base_b, .Lfunc_end60-_ZN9rocsparseL16sddmm_ell_kernelILi512ELi8EfiiDF16_DF16_fEEv20rocsparse_operation_S1_16rocsparse_order_S2_T3_S3_S3_T2_NS_24const_host_device_scalarIT1_EEPKT4_lPKT5_lS7_PT6_PKS3_21rocsparse_index_base_b
                                        ; -- End function
	.set _ZN9rocsparseL16sddmm_ell_kernelILi512ELi8EfiiDF16_DF16_fEEv20rocsparse_operation_S1_16rocsparse_order_S2_T3_S3_S3_T2_NS_24const_host_device_scalarIT1_EEPKT4_lPKT5_lS7_PT6_PKS3_21rocsparse_index_base_b.num_vgpr, 15
	.set _ZN9rocsparseL16sddmm_ell_kernelILi512ELi8EfiiDF16_DF16_fEEv20rocsparse_operation_S1_16rocsparse_order_S2_T3_S3_S3_T2_NS_24const_host_device_scalarIT1_EEPKT4_lPKT5_lS7_PT6_PKS3_21rocsparse_index_base_b.num_agpr, 0
	.set _ZN9rocsparseL16sddmm_ell_kernelILi512ELi8EfiiDF16_DF16_fEEv20rocsparse_operation_S1_16rocsparse_order_S2_T3_S3_S3_T2_NS_24const_host_device_scalarIT1_EEPKT4_lPKT5_lS7_PT6_PKS3_21rocsparse_index_base_b.numbered_sgpr, 26
	.set _ZN9rocsparseL16sddmm_ell_kernelILi512ELi8EfiiDF16_DF16_fEEv20rocsparse_operation_S1_16rocsparse_order_S2_T3_S3_S3_T2_NS_24const_host_device_scalarIT1_EEPKT4_lPKT5_lS7_PT6_PKS3_21rocsparse_index_base_b.num_named_barrier, 0
	.set _ZN9rocsparseL16sddmm_ell_kernelILi512ELi8EfiiDF16_DF16_fEEv20rocsparse_operation_S1_16rocsparse_order_S2_T3_S3_S3_T2_NS_24const_host_device_scalarIT1_EEPKT4_lPKT5_lS7_PT6_PKS3_21rocsparse_index_base_b.private_seg_size, 0
	.set _ZN9rocsparseL16sddmm_ell_kernelILi512ELi8EfiiDF16_DF16_fEEv20rocsparse_operation_S1_16rocsparse_order_S2_T3_S3_S3_T2_NS_24const_host_device_scalarIT1_EEPKT4_lPKT5_lS7_PT6_PKS3_21rocsparse_index_base_b.uses_vcc, 1
	.set _ZN9rocsparseL16sddmm_ell_kernelILi512ELi8EfiiDF16_DF16_fEEv20rocsparse_operation_S1_16rocsparse_order_S2_T3_S3_S3_T2_NS_24const_host_device_scalarIT1_EEPKT4_lPKT5_lS7_PT6_PKS3_21rocsparse_index_base_b.uses_flat_scratch, 0
	.set _ZN9rocsparseL16sddmm_ell_kernelILi512ELi8EfiiDF16_DF16_fEEv20rocsparse_operation_S1_16rocsparse_order_S2_T3_S3_S3_T2_NS_24const_host_device_scalarIT1_EEPKT4_lPKT5_lS7_PT6_PKS3_21rocsparse_index_base_b.has_dyn_sized_stack, 0
	.set _ZN9rocsparseL16sddmm_ell_kernelILi512ELi8EfiiDF16_DF16_fEEv20rocsparse_operation_S1_16rocsparse_order_S2_T3_S3_S3_T2_NS_24const_host_device_scalarIT1_EEPKT4_lPKT5_lS7_PT6_PKS3_21rocsparse_index_base_b.has_recursion, 0
	.set _ZN9rocsparseL16sddmm_ell_kernelILi512ELi8EfiiDF16_DF16_fEEv20rocsparse_operation_S1_16rocsparse_order_S2_T3_S3_S3_T2_NS_24const_host_device_scalarIT1_EEPKT4_lPKT5_lS7_PT6_PKS3_21rocsparse_index_base_b.has_indirect_call, 0
	.section	.AMDGPU.csdata,"",@progbits
; Kernel info:
; codeLenInByte = 1152
; TotalNumSgprs: 30
; NumVgprs: 15
; ScratchSize: 0
; MemoryBound: 0
; FloatMode: 240
; IeeeMode: 1
; LDSByteSize: 2048 bytes/workgroup (compile time only)
; SGPRBlocks: 3
; VGPRBlocks: 3
; NumSGPRsForWavesPerEU: 30
; NumVGPRsForWavesPerEU: 15
; Occupancy: 10
; WaveLimiterHint : 0
; COMPUTE_PGM_RSRC2:SCRATCH_EN: 0
; COMPUTE_PGM_RSRC2:USER_SGPR: 6
; COMPUTE_PGM_RSRC2:TRAP_HANDLER: 0
; COMPUTE_PGM_RSRC2:TGID_X_EN: 1
; COMPUTE_PGM_RSRC2:TGID_Y_EN: 0
; COMPUTE_PGM_RSRC2:TGID_Z_EN: 0
; COMPUTE_PGM_RSRC2:TIDIG_COMP_CNT: 0
	.section	.text._ZN9rocsparseL16sddmm_ell_kernelILi512ELi4EfiiDF16_DF16_fEEv20rocsparse_operation_S1_16rocsparse_order_S2_T3_S3_S3_T2_NS_24const_host_device_scalarIT1_EEPKT4_lPKT5_lS7_PT6_PKS3_21rocsparse_index_base_b,"axG",@progbits,_ZN9rocsparseL16sddmm_ell_kernelILi512ELi4EfiiDF16_DF16_fEEv20rocsparse_operation_S1_16rocsparse_order_S2_T3_S3_S3_T2_NS_24const_host_device_scalarIT1_EEPKT4_lPKT5_lS7_PT6_PKS3_21rocsparse_index_base_b,comdat
	.globl	_ZN9rocsparseL16sddmm_ell_kernelILi512ELi4EfiiDF16_DF16_fEEv20rocsparse_operation_S1_16rocsparse_order_S2_T3_S3_S3_T2_NS_24const_host_device_scalarIT1_EEPKT4_lPKT5_lS7_PT6_PKS3_21rocsparse_index_base_b ; -- Begin function _ZN9rocsparseL16sddmm_ell_kernelILi512ELi4EfiiDF16_DF16_fEEv20rocsparse_operation_S1_16rocsparse_order_S2_T3_S3_S3_T2_NS_24const_host_device_scalarIT1_EEPKT4_lPKT5_lS7_PT6_PKS3_21rocsparse_index_base_b
	.p2align	8
	.type	_ZN9rocsparseL16sddmm_ell_kernelILi512ELi4EfiiDF16_DF16_fEEv20rocsparse_operation_S1_16rocsparse_order_S2_T3_S3_S3_T2_NS_24const_host_device_scalarIT1_EEPKT4_lPKT5_lS7_PT6_PKS3_21rocsparse_index_base_b,@function
_ZN9rocsparseL16sddmm_ell_kernelILi512ELi4EfiiDF16_DF16_fEEv20rocsparse_operation_S1_16rocsparse_order_S2_T3_S3_S3_T2_NS_24const_host_device_scalarIT1_EEPKT4_lPKT5_lS7_PT6_PKS3_21rocsparse_index_base_b: ; @_ZN9rocsparseL16sddmm_ell_kernelILi512ELi4EfiiDF16_DF16_fEEv20rocsparse_operation_S1_16rocsparse_order_S2_T3_S3_S3_T2_NS_24const_host_device_scalarIT1_EEPKT4_lPKT5_lS7_PT6_PKS3_21rocsparse_index_base_b
; %bb.0:
	s_load_dwordx2 s[8:9], s[4:5], 0x60
	s_load_dwordx2 s[12:13], s[4:5], 0x20
	s_load_dwordx4 s[0:3], s[4:5], 0x40
	s_waitcnt lgkmcnt(0)
	s_bitcmp1_b32 s9, 0
	s_cselect_b64 s[14:15], -1, 0
	s_xor_b64 s[10:11], s[14:15], -1
	s_and_b64 vcc, exec, s[14:15]
	s_cbranch_vccnz .LBB61_2
; %bb.1:
	s_load_dword s12, s[12:13], 0x0
.LBB61_2:
	s_andn2_b64 vcc, exec, s[10:11]
	s_cbranch_vccnz .LBB61_4
; %bb.3:
	s_load_dword s2, s[2:3], 0x0
.LBB61_4:
	s_waitcnt lgkmcnt(0)
	v_cmp_eq_f32_e64 s[10:11], s12, 0
	v_cmp_eq_f32_e64 s[14:15], s2, 1.0
	s_and_b64 s[10:11], s[10:11], s[14:15]
	s_and_b64 vcc, exec, s[10:11]
	s_cbranch_vccnz .LBB61_33
; %bb.5:
	s_load_dwordx2 s[14:15], s[4:5], 0x18
	v_lshrrev_b32_e32 v9, 2, v0
	v_lshl_or_b32 v4, s6, 7, v9
	s_waitcnt lgkmcnt(0)
	v_cmp_gt_i32_e32 vcc, s15, v4
	s_and_saveexec_b64 s[6:7], vcc
	s_cbranch_execz .LBB61_33
; %bb.6:
	s_load_dwordx2 s[6:7], s[4:5], 0x58
	v_ashrrev_i32_e32 v5, 31, v4
	v_lshlrev_b64 v[1:2], 2, v[4:5]
	s_waitcnt lgkmcnt(0)
	v_mov_b32_e32 v3, s7
	v_add_co_u32_e32 v6, vcc, s6, v1
	v_addc_co_u32_e32 v7, vcc, v3, v2, vcc
	global_load_dword v3, v[6:7], off
	s_waitcnt vmcnt(0)
	v_subrev_u32_e32 v3, s8, v3
	v_cmp_lt_i32_e32 vcc, -1, v3
	s_and_b64 exec, exec, vcc
	s_cbranch_execz .LBB61_33
; %bb.7:
	s_load_dwordx4 s[8:11], s[4:5], 0x0
	s_load_dword s3, s[4:5], 0x10
	v_sub_u32_e32 v8, 0, v4
	v_max_i32_e32 v4, v4, v8
	s_load_dwordx2 s[18:19], s[4:5], 0x30
	s_waitcnt lgkmcnt(0)
	s_cmp_eq_u32 s10, 1
	s_cselect_b64 s[6:7], -1, 0
	s_cmpk_eq_i32 s8, 0x6f
	s_cselect_b64 s[16:17], -1, 0
	s_cmpk_lg_i32 s8, 0x6f
	s_cselect_b64 s[20:21], -1, 0
	s_abs_i32 s3, s3
	v_cvt_f32_u32_e32 v6, s3
	s_sub_i32 s8, 0, s3
	s_cmp_lg_u32 s10, 1
	v_rcp_iflag_f32_e32 v6, v6
	v_mul_f32_e32 v6, 0x4f7ffffe, v6
	v_cvt_u32_f32_e32 v6, v6
	v_mul_lo_u32 v7, s8, v6
	v_mul_hi_u32 v7, v6, v7
	v_add_u32_e32 v6, v6, v7
	v_mul_hi_u32 v6, v4, v6
	v_mul_lo_u32 v6, v6, s3
	v_sub_u32_e32 v4, v4, v6
	v_subrev_u32_e32 v6, s3, v4
	v_cmp_le_u32_e32 vcc, s3, v4
	v_cndmask_b32_e32 v4, v4, v6, vcc
	v_subrev_u32_e32 v6, s3, v4
	v_cmp_le_u32_e32 vcc, s3, v4
	v_cndmask_b32_e32 v4, v4, v6, vcc
	v_xor_b32_e32 v4, v4, v5
	v_sub_u32_e32 v7, v4, v5
	v_ashrrev_i32_e32 v8, 31, v7
	s_cbranch_scc0 .LBB61_11
; %bb.8:
	v_mov_b32_e32 v5, v7
	s_andn2_b64 vcc, exec, s[16:17]
	v_mov_b32_e32 v6, v8
	s_cbranch_vccnz .LBB61_10
; %bb.9:
	v_mul_lo_u32 v4, s19, v7
	v_mul_lo_u32 v10, s18, v8
	v_mad_u64_u32 v[5:6], s[22:23], s18, v7, 0
	v_add3_u32 v6, v6, v10, v4
.LBB61_10:
	s_cbranch_execz .LBB61_12
	s_branch .LBB61_15
.LBB61_11:
                                        ; implicit-def: $vgpr5_vgpr6
.LBB61_12:
	s_andn2_b64 vcc, exec, s[20:21]
	s_cbranch_vccnz .LBB61_14
; %bb.13:
	v_mul_lo_u32 v4, s19, v7
	v_mul_lo_u32 v5, s18, v8
	v_mad_u64_u32 v[7:8], s[20:21], s18, v7, 0
	v_add3_u32 v8, v8, v5, v4
.LBB61_14:
	v_mov_b32_e32 v5, v7
	v_mov_b32_e32 v6, v8
.LBB61_15:
	s_cmp_eq_u32 s11, 1
	s_cselect_b64 s[20:21], -1, 0
	s_cmpk_eq_i32 s9, 0x6f
	s_cselect_b64 s[22:23], -1, 0
	s_cmpk_lg_i32 s9, 0x6f
	s_cselect_b64 s[8:9], -1, 0
	s_cmp_lg_u32 s11, 1
	v_mov_b32_e32 v4, 0
	s_cbranch_scc0 .LBB61_19
; %bb.16:
	v_mov_b32_e32 v8, v4
	s_andn2_b64 vcc, exec, s[8:9]
	v_mov_b32_e32 v7, v3
	s_cbranch_vccnz .LBB61_18
; %bb.17:
	v_mad_u64_u32 v[7:8], s[8:9], s0, v3, 0
	v_mad_u64_u32 v[10:11], s[8:9], s1, v3, v[8:9]
	v_mov_b32_e32 v8, v10
.LBB61_18:
	s_cbranch_execz .LBB61_20
	s_branch .LBB61_23
.LBB61_19:
                                        ; implicit-def: $vgpr7_vgpr8
.LBB61_20:
	s_andn2_b64 vcc, exec, s[22:23]
	s_cbranch_vccnz .LBB61_22
; %bb.21:
	v_mad_u64_u32 v[7:8], s[8:9], s0, v3, 0
	v_mov_b32_e32 v4, v8
	v_mad_u64_u32 v[3:4], s[8:9], s1, v3, v[4:5]
	v_mov_b32_e32 v8, v3
	v_mov_b32_e32 v3, v7
	;; [unrolled: 1-line block ×3, first 2 shown]
.LBB61_22:
	v_mov_b32_e32 v8, v4
	v_mov_b32_e32 v7, v3
.LBB61_23:
	s_load_dwordx2 s[8:9], s[4:5], 0x50
	v_and_b32_e32 v10, 3, v0
	v_cmp_gt_i32_e32 vcc, s14, v10
	v_mov_b32_e32 v11, 0
	s_and_saveexec_b64 s[10:11], vcc
	s_cbranch_execz .LBB61_27
; %bb.24:
	s_xor_b64 s[6:7], s[16:17], s[6:7]
	s_and_b64 s[6:7], s[6:7], exec
	s_cselect_b32 s6, 1, s18
	v_and_b32_e32 v13, 3, v0
	v_mad_u64_u32 v[3:4], s[16:17], s6, v13, 0
	s_cselect_b32 s7, 0, s19
	s_load_dwordx2 s[16:17], s[4:5], 0x28
	s_load_dwordx2 s[24:25], s[4:5], 0x38
	v_mov_b32_e32 v0, v4
	v_mad_u64_u32 v[11:12], s[18:19], s7, v13, v[0:1]
	s_xor_b64 s[4:5], s[22:23], s[20:21]
	s_and_b64 s[4:5], s[4:5], exec
	s_cselect_b32 s4, s0, 1
	s_cselect_b32 s5, s1, 0
	v_mov_b32_e32 v4, v11
	v_mad_u64_u32 v[11:12], s[0:1], s4, v13, 0
	v_lshlrev_b64 v[3:4], 1, v[3:4]
	v_lshlrev_b64 v[5:6], 1, v[5:6]
	v_mov_b32_e32 v0, v12
	v_add_co_u32_e32 v3, vcc, v3, v5
	v_addc_co_u32_e32 v4, vcc, v4, v6, vcc
	v_mad_u64_u32 v[5:6], s[0:1], s5, v13, v[0:1]
	s_waitcnt lgkmcnt(0)
	v_mov_b32_e32 v14, s17
	v_add_co_u32_e32 v3, vcc, s16, v3
	v_mov_b32_e32 v12, v5
	v_lshlrev_b64 v[5:6], 1, v[11:12]
	v_lshlrev_b64 v[7:8], 1, v[7:8]
	v_addc_co_u32_e32 v4, vcc, v14, v4, vcc
	v_add_co_u32_e32 v0, vcc, v5, v7
	v_addc_co_u32_e32 v6, vcc, v6, v8, vcc
	s_lshl_b64 s[0:1], s[6:7], 3
	v_mov_b32_e32 v7, s25
	v_add_co_u32_e32 v5, vcc, s24, v0
	s_lshl_b64 s[4:5], s[4:5], 3
	v_addc_co_u32_e32 v6, vcc, v7, v6, vcc
	v_mov_b32_e32 v11, 0
	s_mov_b64 s[6:7], 0
	v_mov_b32_e32 v0, s1
	v_mov_b32_e32 v7, s5
	;; [unrolled: 1-line block ×3, first 2 shown]
.LBB61_25:                              ; =>This Inner Loop Header: Depth=1
	global_load_ushort v12, v[3:4], off
	global_load_ushort v13, v[5:6], off
	v_add_co_u32_e32 v3, vcc, s0, v3
	v_addc_co_u32_e32 v4, vcc, v4, v0, vcc
	v_add_co_u32_e32 v5, vcc, s4, v5
	v_add_u32_e32 v8, 4, v8
	v_addc_co_u32_e32 v6, vcc, v6, v7, vcc
	v_cmp_le_i32_e32 vcc, s14, v8
	s_or_b64 s[6:7], vcc, s[6:7]
	s_waitcnt vmcnt(0)
	v_mul_f16_e32 v12, v12, v13
	v_cvt_f32_f16_e32 v12, v12
	v_add_f32_e32 v11, v11, v12
	s_andn2_b64 exec, exec, s[6:7]
	s_cbranch_execnz .LBB61_25
; %bb.26:
	s_or_b64 exec, exec, s[6:7]
.LBB61_27:
	s_or_b64 exec, exec, s[10:11]
	v_lshlrev_b32_e32 v0, 4, v9
	v_lshl_or_b32 v3, v10, 2, v0
	v_cmp_gt_u32_e32 vcc, 2, v10
	ds_write_b32 v3, v11
	s_waitcnt lgkmcnt(0)
	s_barrier
	s_and_saveexec_b64 s[0:1], vcc
	s_cbranch_execz .LBB61_29
; %bb.28:
	ds_read2_b32 v[4:5], v3 offset1:2
	s_waitcnt lgkmcnt(0)
	v_add_f32_e32 v4, v5, v4
	ds_write_b32 v3, v4
.LBB61_29:
	s_or_b64 exec, exec, s[0:1]
	v_cmp_eq_u32_e32 vcc, 0, v10
	s_waitcnt lgkmcnt(0)
	s_barrier
	s_and_saveexec_b64 s[0:1], vcc
	s_cbranch_execz .LBB61_31
; %bb.30:
	ds_read2_b32 v[4:5], v3 offset1:1
	s_waitcnt lgkmcnt(0)
	v_add_f32_e32 v4, v5, v4
	ds_write_b32 v3, v4
.LBB61_31:
	s_or_b64 exec, exec, s[0:1]
	s_waitcnt lgkmcnt(0)
	s_barrier
	s_and_b64 exec, exec, vcc
	s_cbranch_execz .LBB61_33
; %bb.32:
	v_mov_b32_e32 v3, s9
	v_add_co_u32_e32 v1, vcc, s8, v1
	v_addc_co_u32_e32 v2, vcc, v3, v2, vcc
	global_load_dword v3, v[1:2], off
	ds_read_b32 v0, v0
	s_waitcnt lgkmcnt(0)
	v_mul_f32_e32 v0, s12, v0
	s_waitcnt vmcnt(0)
	v_fmac_f32_e32 v0, s2, v3
	global_store_dword v[1:2], v0, off
.LBB61_33:
	s_endpgm
	.section	.rodata,"a",@progbits
	.p2align	6, 0x0
	.amdhsa_kernel _ZN9rocsparseL16sddmm_ell_kernelILi512ELi4EfiiDF16_DF16_fEEv20rocsparse_operation_S1_16rocsparse_order_S2_T3_S3_S3_T2_NS_24const_host_device_scalarIT1_EEPKT4_lPKT5_lS7_PT6_PKS3_21rocsparse_index_base_b
		.amdhsa_group_segment_fixed_size 2048
		.amdhsa_private_segment_fixed_size 0
		.amdhsa_kernarg_size 104
		.amdhsa_user_sgpr_count 6
		.amdhsa_user_sgpr_private_segment_buffer 1
		.amdhsa_user_sgpr_dispatch_ptr 0
		.amdhsa_user_sgpr_queue_ptr 0
		.amdhsa_user_sgpr_kernarg_segment_ptr 1
		.amdhsa_user_sgpr_dispatch_id 0
		.amdhsa_user_sgpr_flat_scratch_init 0
		.amdhsa_user_sgpr_private_segment_size 0
		.amdhsa_uses_dynamic_stack 0
		.amdhsa_system_sgpr_private_segment_wavefront_offset 0
		.amdhsa_system_sgpr_workgroup_id_x 1
		.amdhsa_system_sgpr_workgroup_id_y 0
		.amdhsa_system_sgpr_workgroup_id_z 0
		.amdhsa_system_sgpr_workgroup_info 0
		.amdhsa_system_vgpr_workitem_id 0
		.amdhsa_next_free_vgpr 15
		.amdhsa_next_free_sgpr 26
		.amdhsa_reserve_vcc 1
		.amdhsa_reserve_flat_scratch 0
		.amdhsa_float_round_mode_32 0
		.amdhsa_float_round_mode_16_64 0
		.amdhsa_float_denorm_mode_32 3
		.amdhsa_float_denorm_mode_16_64 3
		.amdhsa_dx10_clamp 1
		.amdhsa_ieee_mode 1
		.amdhsa_fp16_overflow 0
		.amdhsa_exception_fp_ieee_invalid_op 0
		.amdhsa_exception_fp_denorm_src 0
		.amdhsa_exception_fp_ieee_div_zero 0
		.amdhsa_exception_fp_ieee_overflow 0
		.amdhsa_exception_fp_ieee_underflow 0
		.amdhsa_exception_fp_ieee_inexact 0
		.amdhsa_exception_int_div_zero 0
	.end_amdhsa_kernel
	.section	.text._ZN9rocsparseL16sddmm_ell_kernelILi512ELi4EfiiDF16_DF16_fEEv20rocsparse_operation_S1_16rocsparse_order_S2_T3_S3_S3_T2_NS_24const_host_device_scalarIT1_EEPKT4_lPKT5_lS7_PT6_PKS3_21rocsparse_index_base_b,"axG",@progbits,_ZN9rocsparseL16sddmm_ell_kernelILi512ELi4EfiiDF16_DF16_fEEv20rocsparse_operation_S1_16rocsparse_order_S2_T3_S3_S3_T2_NS_24const_host_device_scalarIT1_EEPKT4_lPKT5_lS7_PT6_PKS3_21rocsparse_index_base_b,comdat
.Lfunc_end61:
	.size	_ZN9rocsparseL16sddmm_ell_kernelILi512ELi4EfiiDF16_DF16_fEEv20rocsparse_operation_S1_16rocsparse_order_S2_T3_S3_S3_T2_NS_24const_host_device_scalarIT1_EEPKT4_lPKT5_lS7_PT6_PKS3_21rocsparse_index_base_b, .Lfunc_end61-_ZN9rocsparseL16sddmm_ell_kernelILi512ELi4EfiiDF16_DF16_fEEv20rocsparse_operation_S1_16rocsparse_order_S2_T3_S3_S3_T2_NS_24const_host_device_scalarIT1_EEPKT4_lPKT5_lS7_PT6_PKS3_21rocsparse_index_base_b
                                        ; -- End function
	.set _ZN9rocsparseL16sddmm_ell_kernelILi512ELi4EfiiDF16_DF16_fEEv20rocsparse_operation_S1_16rocsparse_order_S2_T3_S3_S3_T2_NS_24const_host_device_scalarIT1_EEPKT4_lPKT5_lS7_PT6_PKS3_21rocsparse_index_base_b.num_vgpr, 15
	.set _ZN9rocsparseL16sddmm_ell_kernelILi512ELi4EfiiDF16_DF16_fEEv20rocsparse_operation_S1_16rocsparse_order_S2_T3_S3_S3_T2_NS_24const_host_device_scalarIT1_EEPKT4_lPKT5_lS7_PT6_PKS3_21rocsparse_index_base_b.num_agpr, 0
	.set _ZN9rocsparseL16sddmm_ell_kernelILi512ELi4EfiiDF16_DF16_fEEv20rocsparse_operation_S1_16rocsparse_order_S2_T3_S3_S3_T2_NS_24const_host_device_scalarIT1_EEPKT4_lPKT5_lS7_PT6_PKS3_21rocsparse_index_base_b.numbered_sgpr, 26
	.set _ZN9rocsparseL16sddmm_ell_kernelILi512ELi4EfiiDF16_DF16_fEEv20rocsparse_operation_S1_16rocsparse_order_S2_T3_S3_S3_T2_NS_24const_host_device_scalarIT1_EEPKT4_lPKT5_lS7_PT6_PKS3_21rocsparse_index_base_b.num_named_barrier, 0
	.set _ZN9rocsparseL16sddmm_ell_kernelILi512ELi4EfiiDF16_DF16_fEEv20rocsparse_operation_S1_16rocsparse_order_S2_T3_S3_S3_T2_NS_24const_host_device_scalarIT1_EEPKT4_lPKT5_lS7_PT6_PKS3_21rocsparse_index_base_b.private_seg_size, 0
	.set _ZN9rocsparseL16sddmm_ell_kernelILi512ELi4EfiiDF16_DF16_fEEv20rocsparse_operation_S1_16rocsparse_order_S2_T3_S3_S3_T2_NS_24const_host_device_scalarIT1_EEPKT4_lPKT5_lS7_PT6_PKS3_21rocsparse_index_base_b.uses_vcc, 1
	.set _ZN9rocsparseL16sddmm_ell_kernelILi512ELi4EfiiDF16_DF16_fEEv20rocsparse_operation_S1_16rocsparse_order_S2_T3_S3_S3_T2_NS_24const_host_device_scalarIT1_EEPKT4_lPKT5_lS7_PT6_PKS3_21rocsparse_index_base_b.uses_flat_scratch, 0
	.set _ZN9rocsparseL16sddmm_ell_kernelILi512ELi4EfiiDF16_DF16_fEEv20rocsparse_operation_S1_16rocsparse_order_S2_T3_S3_S3_T2_NS_24const_host_device_scalarIT1_EEPKT4_lPKT5_lS7_PT6_PKS3_21rocsparse_index_base_b.has_dyn_sized_stack, 0
	.set _ZN9rocsparseL16sddmm_ell_kernelILi512ELi4EfiiDF16_DF16_fEEv20rocsparse_operation_S1_16rocsparse_order_S2_T3_S3_S3_T2_NS_24const_host_device_scalarIT1_EEPKT4_lPKT5_lS7_PT6_PKS3_21rocsparse_index_base_b.has_recursion, 0
	.set _ZN9rocsparseL16sddmm_ell_kernelILi512ELi4EfiiDF16_DF16_fEEv20rocsparse_operation_S1_16rocsparse_order_S2_T3_S3_S3_T2_NS_24const_host_device_scalarIT1_EEPKT4_lPKT5_lS7_PT6_PKS3_21rocsparse_index_base_b.has_indirect_call, 0
	.section	.AMDGPU.csdata,"",@progbits
; Kernel info:
; codeLenInByte = 1104
; TotalNumSgprs: 30
; NumVgprs: 15
; ScratchSize: 0
; MemoryBound: 0
; FloatMode: 240
; IeeeMode: 1
; LDSByteSize: 2048 bytes/workgroup (compile time only)
; SGPRBlocks: 3
; VGPRBlocks: 3
; NumSGPRsForWavesPerEU: 30
; NumVGPRsForWavesPerEU: 15
; Occupancy: 10
; WaveLimiterHint : 0
; COMPUTE_PGM_RSRC2:SCRATCH_EN: 0
; COMPUTE_PGM_RSRC2:USER_SGPR: 6
; COMPUTE_PGM_RSRC2:TRAP_HANDLER: 0
; COMPUTE_PGM_RSRC2:TGID_X_EN: 1
; COMPUTE_PGM_RSRC2:TGID_Y_EN: 0
; COMPUTE_PGM_RSRC2:TGID_Z_EN: 0
; COMPUTE_PGM_RSRC2:TIDIG_COMP_CNT: 0
	.section	.text._ZN9rocsparseL16sddmm_ell_kernelILi512ELi2EfiiDF16_DF16_fEEv20rocsparse_operation_S1_16rocsparse_order_S2_T3_S3_S3_T2_NS_24const_host_device_scalarIT1_EEPKT4_lPKT5_lS7_PT6_PKS3_21rocsparse_index_base_b,"axG",@progbits,_ZN9rocsparseL16sddmm_ell_kernelILi512ELi2EfiiDF16_DF16_fEEv20rocsparse_operation_S1_16rocsparse_order_S2_T3_S3_S3_T2_NS_24const_host_device_scalarIT1_EEPKT4_lPKT5_lS7_PT6_PKS3_21rocsparse_index_base_b,comdat
	.globl	_ZN9rocsparseL16sddmm_ell_kernelILi512ELi2EfiiDF16_DF16_fEEv20rocsparse_operation_S1_16rocsparse_order_S2_T3_S3_S3_T2_NS_24const_host_device_scalarIT1_EEPKT4_lPKT5_lS7_PT6_PKS3_21rocsparse_index_base_b ; -- Begin function _ZN9rocsparseL16sddmm_ell_kernelILi512ELi2EfiiDF16_DF16_fEEv20rocsparse_operation_S1_16rocsparse_order_S2_T3_S3_S3_T2_NS_24const_host_device_scalarIT1_EEPKT4_lPKT5_lS7_PT6_PKS3_21rocsparse_index_base_b
	.p2align	8
	.type	_ZN9rocsparseL16sddmm_ell_kernelILi512ELi2EfiiDF16_DF16_fEEv20rocsparse_operation_S1_16rocsparse_order_S2_T3_S3_S3_T2_NS_24const_host_device_scalarIT1_EEPKT4_lPKT5_lS7_PT6_PKS3_21rocsparse_index_base_b,@function
_ZN9rocsparseL16sddmm_ell_kernelILi512ELi2EfiiDF16_DF16_fEEv20rocsparse_operation_S1_16rocsparse_order_S2_T3_S3_S3_T2_NS_24const_host_device_scalarIT1_EEPKT4_lPKT5_lS7_PT6_PKS3_21rocsparse_index_base_b: ; @_ZN9rocsparseL16sddmm_ell_kernelILi512ELi2EfiiDF16_DF16_fEEv20rocsparse_operation_S1_16rocsparse_order_S2_T3_S3_S3_T2_NS_24const_host_device_scalarIT1_EEPKT4_lPKT5_lS7_PT6_PKS3_21rocsparse_index_base_b
; %bb.0:
	s_load_dwordx2 s[8:9], s[4:5], 0x60
	s_load_dwordx2 s[12:13], s[4:5], 0x20
	s_load_dwordx4 s[0:3], s[4:5], 0x40
	s_waitcnt lgkmcnt(0)
	s_bitcmp1_b32 s9, 0
	s_cselect_b64 s[14:15], -1, 0
	s_xor_b64 s[10:11], s[14:15], -1
	s_and_b64 vcc, exec, s[14:15]
	s_cbranch_vccnz .LBB62_2
; %bb.1:
	s_load_dword s12, s[12:13], 0x0
.LBB62_2:
	s_andn2_b64 vcc, exec, s[10:11]
	s_cbranch_vccnz .LBB62_4
; %bb.3:
	s_load_dword s2, s[2:3], 0x0
.LBB62_4:
	s_waitcnt lgkmcnt(0)
	v_cmp_eq_f32_e64 s[10:11], s12, 0
	v_cmp_eq_f32_e64 s[14:15], s2, 1.0
	s_and_b64 s[10:11], s[10:11], s[14:15]
	s_and_b64 vcc, exec, s[10:11]
	s_cbranch_vccnz .LBB62_31
; %bb.5:
	s_load_dwordx2 s[14:15], s[4:5], 0x18
	v_lshrrev_b32_e32 v9, 1, v0
	v_lshl_or_b32 v4, s6, 8, v9
	s_waitcnt lgkmcnt(0)
	v_cmp_gt_i32_e32 vcc, s15, v4
	s_and_saveexec_b64 s[6:7], vcc
	s_cbranch_execz .LBB62_31
; %bb.6:
	s_load_dwordx2 s[6:7], s[4:5], 0x58
	v_ashrrev_i32_e32 v5, 31, v4
	v_lshlrev_b64 v[1:2], 2, v[4:5]
	s_waitcnt lgkmcnt(0)
	v_mov_b32_e32 v3, s7
	v_add_co_u32_e32 v6, vcc, s6, v1
	v_addc_co_u32_e32 v7, vcc, v3, v2, vcc
	global_load_dword v3, v[6:7], off
	s_waitcnt vmcnt(0)
	v_subrev_u32_e32 v3, s8, v3
	v_cmp_lt_i32_e32 vcc, -1, v3
	s_and_b64 exec, exec, vcc
	s_cbranch_execz .LBB62_31
; %bb.7:
	s_load_dwordx4 s[8:11], s[4:5], 0x0
	s_load_dword s3, s[4:5], 0x10
	v_sub_u32_e32 v8, 0, v4
	v_max_i32_e32 v4, v4, v8
	s_load_dwordx2 s[18:19], s[4:5], 0x30
	s_waitcnt lgkmcnt(0)
	s_cmp_eq_u32 s10, 1
	s_cselect_b64 s[6:7], -1, 0
	s_cmpk_eq_i32 s8, 0x6f
	s_cselect_b64 s[16:17], -1, 0
	s_cmpk_lg_i32 s8, 0x6f
	s_cselect_b64 s[20:21], -1, 0
	s_abs_i32 s3, s3
	v_cvt_f32_u32_e32 v6, s3
	s_sub_i32 s8, 0, s3
	s_cmp_lg_u32 s10, 1
	v_rcp_iflag_f32_e32 v6, v6
	v_mul_f32_e32 v6, 0x4f7ffffe, v6
	v_cvt_u32_f32_e32 v6, v6
	v_mul_lo_u32 v7, s8, v6
	v_mul_hi_u32 v7, v6, v7
	v_add_u32_e32 v6, v6, v7
	v_mul_hi_u32 v6, v4, v6
	v_mul_lo_u32 v6, v6, s3
	v_sub_u32_e32 v4, v4, v6
	v_subrev_u32_e32 v6, s3, v4
	v_cmp_le_u32_e32 vcc, s3, v4
	v_cndmask_b32_e32 v4, v4, v6, vcc
	v_subrev_u32_e32 v6, s3, v4
	v_cmp_le_u32_e32 vcc, s3, v4
	v_cndmask_b32_e32 v4, v4, v6, vcc
	v_xor_b32_e32 v4, v4, v5
	v_sub_u32_e32 v7, v4, v5
	v_ashrrev_i32_e32 v8, 31, v7
	s_cbranch_scc0 .LBB62_11
; %bb.8:
	v_mov_b32_e32 v5, v7
	s_andn2_b64 vcc, exec, s[16:17]
	v_mov_b32_e32 v6, v8
	s_cbranch_vccnz .LBB62_10
; %bb.9:
	v_mul_lo_u32 v4, s19, v7
	v_mul_lo_u32 v10, s18, v8
	v_mad_u64_u32 v[5:6], s[22:23], s18, v7, 0
	v_add3_u32 v6, v6, v10, v4
.LBB62_10:
	s_cbranch_execz .LBB62_12
	s_branch .LBB62_15
.LBB62_11:
                                        ; implicit-def: $vgpr5_vgpr6
.LBB62_12:
	s_andn2_b64 vcc, exec, s[20:21]
	s_cbranch_vccnz .LBB62_14
; %bb.13:
	v_mul_lo_u32 v4, s19, v7
	v_mul_lo_u32 v5, s18, v8
	v_mad_u64_u32 v[7:8], s[20:21], s18, v7, 0
	v_add3_u32 v8, v8, v5, v4
.LBB62_14:
	v_mov_b32_e32 v5, v7
	v_mov_b32_e32 v6, v8
.LBB62_15:
	s_cmp_eq_u32 s11, 1
	s_cselect_b64 s[20:21], -1, 0
	s_cmpk_eq_i32 s9, 0x6f
	s_cselect_b64 s[22:23], -1, 0
	s_cmpk_lg_i32 s9, 0x6f
	s_cselect_b64 s[8:9], -1, 0
	s_cmp_lg_u32 s11, 1
	v_mov_b32_e32 v4, 0
	s_cbranch_scc0 .LBB62_19
; %bb.16:
	v_mov_b32_e32 v8, v4
	s_andn2_b64 vcc, exec, s[8:9]
	v_mov_b32_e32 v7, v3
	s_cbranch_vccnz .LBB62_18
; %bb.17:
	v_mad_u64_u32 v[7:8], s[8:9], s0, v3, 0
	v_mad_u64_u32 v[10:11], s[8:9], s1, v3, v[8:9]
	v_mov_b32_e32 v8, v10
.LBB62_18:
	s_cbranch_execz .LBB62_20
	s_branch .LBB62_23
.LBB62_19:
                                        ; implicit-def: $vgpr7_vgpr8
.LBB62_20:
	s_andn2_b64 vcc, exec, s[22:23]
	s_cbranch_vccnz .LBB62_22
; %bb.21:
	v_mad_u64_u32 v[7:8], s[8:9], s0, v3, 0
	v_mov_b32_e32 v4, v8
	v_mad_u64_u32 v[3:4], s[8:9], s1, v3, v[4:5]
	v_mov_b32_e32 v8, v3
	v_mov_b32_e32 v3, v7
	;; [unrolled: 1-line block ×3, first 2 shown]
.LBB62_22:
	v_mov_b32_e32 v8, v4
	v_mov_b32_e32 v7, v3
.LBB62_23:
	s_load_dwordx2 s[8:9], s[4:5], 0x50
	v_and_b32_e32 v10, 1, v0
	v_cmp_gt_i32_e32 vcc, s14, v10
	v_mov_b32_e32 v11, 0
	s_and_saveexec_b64 s[10:11], vcc
	s_cbranch_execz .LBB62_27
; %bb.24:
	s_load_dwordx2 s[24:25], s[4:5], 0x28
	s_load_dwordx2 s[26:27], s[4:5], 0x38
	s_xor_b64 s[4:5], s[16:17], s[6:7]
	s_and_b64 s[4:5], s[4:5], exec
	s_cselect_b32 s5, 0, s19
	s_cselect_b32 s4, 1, s18
	v_and_b32_e32 v0, 1, v0
	v_mul_lo_u32 v4, s5, v0
	v_mul_lo_u32 v3, s4, v0
	s_xor_b64 s[6:7], s[22:23], s[20:21]
	v_lshlrev_b64 v[5:6], 1, v[5:6]
	s_and_b64 s[6:7], s[6:7], exec
	v_lshlrev_b64 v[3:4], 1, v[3:4]
	s_cselect_b32 s7, s1, 0
	s_cselect_b32 s6, s0, 1
	v_add_co_u32_e32 v3, vcc, v3, v5
	v_addc_co_u32_e32 v4, vcc, v4, v6, vcc
	v_mul_lo_u32 v6, s7, v0
	v_mul_lo_u32 v5, s6, v0
	s_waitcnt lgkmcnt(0)
	v_mov_b32_e32 v11, s25
	v_add_co_u32_e32 v3, vcc, s24, v3
	v_lshlrev_b64 v[5:6], 1, v[5:6]
	v_lshlrev_b64 v[7:8], 1, v[7:8]
	v_addc_co_u32_e32 v4, vcc, v11, v4, vcc
	v_add_co_u32_e32 v0, vcc, v5, v7
	v_addc_co_u32_e32 v6, vcc, v6, v8, vcc
	s_lshl_b64 s[0:1], s[4:5], 2
	v_mov_b32_e32 v7, s27
	v_add_co_u32_e32 v5, vcc, s26, v0
	s_lshl_b64 s[4:5], s[6:7], 2
	v_addc_co_u32_e32 v6, vcc, v7, v6, vcc
	v_mov_b32_e32 v11, 0
	s_mov_b64 s[6:7], 0
	v_mov_b32_e32 v0, s1
	v_mov_b32_e32 v7, s5
	;; [unrolled: 1-line block ×3, first 2 shown]
.LBB62_25:                              ; =>This Inner Loop Header: Depth=1
	global_load_ushort v12, v[3:4], off
	global_load_ushort v13, v[5:6], off
	v_add_co_u32_e32 v3, vcc, s0, v3
	v_addc_co_u32_e32 v4, vcc, v4, v0, vcc
	v_add_co_u32_e32 v5, vcc, s4, v5
	v_add_u32_e32 v8, 2, v8
	v_addc_co_u32_e32 v6, vcc, v6, v7, vcc
	v_cmp_le_i32_e32 vcc, s14, v8
	s_or_b64 s[6:7], vcc, s[6:7]
	s_waitcnt vmcnt(0)
	v_mul_f16_e32 v12, v12, v13
	v_cvt_f32_f16_e32 v12, v12
	v_add_f32_e32 v11, v11, v12
	s_andn2_b64 exec, exec, s[6:7]
	s_cbranch_execnz .LBB62_25
; %bb.26:
	s_or_b64 exec, exec, s[6:7]
.LBB62_27:
	s_or_b64 exec, exec, s[10:11]
	v_lshlrev_b32_e32 v0, 3, v9
	v_lshl_or_b32 v3, v10, 2, v0
	v_cmp_eq_u32_e32 vcc, 0, v10
	ds_write_b32 v3, v11
	s_waitcnt lgkmcnt(0)
	s_barrier
	s_and_saveexec_b64 s[0:1], vcc
	s_cbranch_execz .LBB62_29
; %bb.28:
	ds_read_b32 v4, v0 offset:4
	ds_read_b32 v5, v3
	s_waitcnt lgkmcnt(0)
	v_add_f32_e32 v4, v4, v5
	ds_write_b32 v3, v4
.LBB62_29:
	s_or_b64 exec, exec, s[0:1]
	s_waitcnt lgkmcnt(0)
	s_barrier
	s_and_b64 exec, exec, vcc
	s_cbranch_execz .LBB62_31
; %bb.30:
	v_mov_b32_e32 v3, s9
	v_add_co_u32_e32 v1, vcc, s8, v1
	v_addc_co_u32_e32 v2, vcc, v3, v2, vcc
	global_load_dword v3, v[1:2], off
	ds_read_b32 v0, v0
	s_waitcnt lgkmcnt(0)
	v_mul_f32_e32 v0, s12, v0
	s_waitcnt vmcnt(0)
	v_fmac_f32_e32 v0, s2, v3
	global_store_dword v[1:2], v0, off
.LBB62_31:
	s_endpgm
	.section	.rodata,"a",@progbits
	.p2align	6, 0x0
	.amdhsa_kernel _ZN9rocsparseL16sddmm_ell_kernelILi512ELi2EfiiDF16_DF16_fEEv20rocsparse_operation_S1_16rocsparse_order_S2_T3_S3_S3_T2_NS_24const_host_device_scalarIT1_EEPKT4_lPKT5_lS7_PT6_PKS3_21rocsparse_index_base_b
		.amdhsa_group_segment_fixed_size 2048
		.amdhsa_private_segment_fixed_size 0
		.amdhsa_kernarg_size 104
		.amdhsa_user_sgpr_count 6
		.amdhsa_user_sgpr_private_segment_buffer 1
		.amdhsa_user_sgpr_dispatch_ptr 0
		.amdhsa_user_sgpr_queue_ptr 0
		.amdhsa_user_sgpr_kernarg_segment_ptr 1
		.amdhsa_user_sgpr_dispatch_id 0
		.amdhsa_user_sgpr_flat_scratch_init 0
		.amdhsa_user_sgpr_private_segment_size 0
		.amdhsa_uses_dynamic_stack 0
		.amdhsa_system_sgpr_private_segment_wavefront_offset 0
		.amdhsa_system_sgpr_workgroup_id_x 1
		.amdhsa_system_sgpr_workgroup_id_y 0
		.amdhsa_system_sgpr_workgroup_id_z 0
		.amdhsa_system_sgpr_workgroup_info 0
		.amdhsa_system_vgpr_workitem_id 0
		.amdhsa_next_free_vgpr 14
		.amdhsa_next_free_sgpr 28
		.amdhsa_reserve_vcc 1
		.amdhsa_reserve_flat_scratch 0
		.amdhsa_float_round_mode_32 0
		.amdhsa_float_round_mode_16_64 0
		.amdhsa_float_denorm_mode_32 3
		.amdhsa_float_denorm_mode_16_64 3
		.amdhsa_dx10_clamp 1
		.amdhsa_ieee_mode 1
		.amdhsa_fp16_overflow 0
		.amdhsa_exception_fp_ieee_invalid_op 0
		.amdhsa_exception_fp_denorm_src 0
		.amdhsa_exception_fp_ieee_div_zero 0
		.amdhsa_exception_fp_ieee_overflow 0
		.amdhsa_exception_fp_ieee_underflow 0
		.amdhsa_exception_fp_ieee_inexact 0
		.amdhsa_exception_int_div_zero 0
	.end_amdhsa_kernel
	.section	.text._ZN9rocsparseL16sddmm_ell_kernelILi512ELi2EfiiDF16_DF16_fEEv20rocsparse_operation_S1_16rocsparse_order_S2_T3_S3_S3_T2_NS_24const_host_device_scalarIT1_EEPKT4_lPKT5_lS7_PT6_PKS3_21rocsparse_index_base_b,"axG",@progbits,_ZN9rocsparseL16sddmm_ell_kernelILi512ELi2EfiiDF16_DF16_fEEv20rocsparse_operation_S1_16rocsparse_order_S2_T3_S3_S3_T2_NS_24const_host_device_scalarIT1_EEPKT4_lPKT5_lS7_PT6_PKS3_21rocsparse_index_base_b,comdat
.Lfunc_end62:
	.size	_ZN9rocsparseL16sddmm_ell_kernelILi512ELi2EfiiDF16_DF16_fEEv20rocsparse_operation_S1_16rocsparse_order_S2_T3_S3_S3_T2_NS_24const_host_device_scalarIT1_EEPKT4_lPKT5_lS7_PT6_PKS3_21rocsparse_index_base_b, .Lfunc_end62-_ZN9rocsparseL16sddmm_ell_kernelILi512ELi2EfiiDF16_DF16_fEEv20rocsparse_operation_S1_16rocsparse_order_S2_T3_S3_S3_T2_NS_24const_host_device_scalarIT1_EEPKT4_lPKT5_lS7_PT6_PKS3_21rocsparse_index_base_b
                                        ; -- End function
	.set _ZN9rocsparseL16sddmm_ell_kernelILi512ELi2EfiiDF16_DF16_fEEv20rocsparse_operation_S1_16rocsparse_order_S2_T3_S3_S3_T2_NS_24const_host_device_scalarIT1_EEPKT4_lPKT5_lS7_PT6_PKS3_21rocsparse_index_base_b.num_vgpr, 14
	.set _ZN9rocsparseL16sddmm_ell_kernelILi512ELi2EfiiDF16_DF16_fEEv20rocsparse_operation_S1_16rocsparse_order_S2_T3_S3_S3_T2_NS_24const_host_device_scalarIT1_EEPKT4_lPKT5_lS7_PT6_PKS3_21rocsparse_index_base_b.num_agpr, 0
	.set _ZN9rocsparseL16sddmm_ell_kernelILi512ELi2EfiiDF16_DF16_fEEv20rocsparse_operation_S1_16rocsparse_order_S2_T3_S3_S3_T2_NS_24const_host_device_scalarIT1_EEPKT4_lPKT5_lS7_PT6_PKS3_21rocsparse_index_base_b.numbered_sgpr, 28
	.set _ZN9rocsparseL16sddmm_ell_kernelILi512ELi2EfiiDF16_DF16_fEEv20rocsparse_operation_S1_16rocsparse_order_S2_T3_S3_S3_T2_NS_24const_host_device_scalarIT1_EEPKT4_lPKT5_lS7_PT6_PKS3_21rocsparse_index_base_b.num_named_barrier, 0
	.set _ZN9rocsparseL16sddmm_ell_kernelILi512ELi2EfiiDF16_DF16_fEEv20rocsparse_operation_S1_16rocsparse_order_S2_T3_S3_S3_T2_NS_24const_host_device_scalarIT1_EEPKT4_lPKT5_lS7_PT6_PKS3_21rocsparse_index_base_b.private_seg_size, 0
	.set _ZN9rocsparseL16sddmm_ell_kernelILi512ELi2EfiiDF16_DF16_fEEv20rocsparse_operation_S1_16rocsparse_order_S2_T3_S3_S3_T2_NS_24const_host_device_scalarIT1_EEPKT4_lPKT5_lS7_PT6_PKS3_21rocsparse_index_base_b.uses_vcc, 1
	.set _ZN9rocsparseL16sddmm_ell_kernelILi512ELi2EfiiDF16_DF16_fEEv20rocsparse_operation_S1_16rocsparse_order_S2_T3_S3_S3_T2_NS_24const_host_device_scalarIT1_EEPKT4_lPKT5_lS7_PT6_PKS3_21rocsparse_index_base_b.uses_flat_scratch, 0
	.set _ZN9rocsparseL16sddmm_ell_kernelILi512ELi2EfiiDF16_DF16_fEEv20rocsparse_operation_S1_16rocsparse_order_S2_T3_S3_S3_T2_NS_24const_host_device_scalarIT1_EEPKT4_lPKT5_lS7_PT6_PKS3_21rocsparse_index_base_b.has_dyn_sized_stack, 0
	.set _ZN9rocsparseL16sddmm_ell_kernelILi512ELi2EfiiDF16_DF16_fEEv20rocsparse_operation_S1_16rocsparse_order_S2_T3_S3_S3_T2_NS_24const_host_device_scalarIT1_EEPKT4_lPKT5_lS7_PT6_PKS3_21rocsparse_index_base_b.has_recursion, 0
	.set _ZN9rocsparseL16sddmm_ell_kernelILi512ELi2EfiiDF16_DF16_fEEv20rocsparse_operation_S1_16rocsparse_order_S2_T3_S3_S3_T2_NS_24const_host_device_scalarIT1_EEPKT4_lPKT5_lS7_PT6_PKS3_21rocsparse_index_base_b.has_indirect_call, 0
	.section	.AMDGPU.csdata,"",@progbits
; Kernel info:
; codeLenInByte = 1048
; TotalNumSgprs: 32
; NumVgprs: 14
; ScratchSize: 0
; MemoryBound: 0
; FloatMode: 240
; IeeeMode: 1
; LDSByteSize: 2048 bytes/workgroup (compile time only)
; SGPRBlocks: 3
; VGPRBlocks: 3
; NumSGPRsForWavesPerEU: 32
; NumVGPRsForWavesPerEU: 14
; Occupancy: 10
; WaveLimiterHint : 0
; COMPUTE_PGM_RSRC2:SCRATCH_EN: 0
; COMPUTE_PGM_RSRC2:USER_SGPR: 6
; COMPUTE_PGM_RSRC2:TRAP_HANDLER: 0
; COMPUTE_PGM_RSRC2:TGID_X_EN: 1
; COMPUTE_PGM_RSRC2:TGID_Y_EN: 0
; COMPUTE_PGM_RSRC2:TGID_Z_EN: 0
; COMPUTE_PGM_RSRC2:TIDIG_COMP_CNT: 0
	.section	.text._ZN9rocsparseL16sddmm_ell_kernelILi512ELi1EfiiDF16_DF16_fEEv20rocsparse_operation_S1_16rocsparse_order_S2_T3_S3_S3_T2_NS_24const_host_device_scalarIT1_EEPKT4_lPKT5_lS7_PT6_PKS3_21rocsparse_index_base_b,"axG",@progbits,_ZN9rocsparseL16sddmm_ell_kernelILi512ELi1EfiiDF16_DF16_fEEv20rocsparse_operation_S1_16rocsparse_order_S2_T3_S3_S3_T2_NS_24const_host_device_scalarIT1_EEPKT4_lPKT5_lS7_PT6_PKS3_21rocsparse_index_base_b,comdat
	.globl	_ZN9rocsparseL16sddmm_ell_kernelILi512ELi1EfiiDF16_DF16_fEEv20rocsparse_operation_S1_16rocsparse_order_S2_T3_S3_S3_T2_NS_24const_host_device_scalarIT1_EEPKT4_lPKT5_lS7_PT6_PKS3_21rocsparse_index_base_b ; -- Begin function _ZN9rocsparseL16sddmm_ell_kernelILi512ELi1EfiiDF16_DF16_fEEv20rocsparse_operation_S1_16rocsparse_order_S2_T3_S3_S3_T2_NS_24const_host_device_scalarIT1_EEPKT4_lPKT5_lS7_PT6_PKS3_21rocsparse_index_base_b
	.p2align	8
	.type	_ZN9rocsparseL16sddmm_ell_kernelILi512ELi1EfiiDF16_DF16_fEEv20rocsparse_operation_S1_16rocsparse_order_S2_T3_S3_S3_T2_NS_24const_host_device_scalarIT1_EEPKT4_lPKT5_lS7_PT6_PKS3_21rocsparse_index_base_b,@function
_ZN9rocsparseL16sddmm_ell_kernelILi512ELi1EfiiDF16_DF16_fEEv20rocsparse_operation_S1_16rocsparse_order_S2_T3_S3_S3_T2_NS_24const_host_device_scalarIT1_EEPKT4_lPKT5_lS7_PT6_PKS3_21rocsparse_index_base_b: ; @_ZN9rocsparseL16sddmm_ell_kernelILi512ELi1EfiiDF16_DF16_fEEv20rocsparse_operation_S1_16rocsparse_order_S2_T3_S3_S3_T2_NS_24const_host_device_scalarIT1_EEPKT4_lPKT5_lS7_PT6_PKS3_21rocsparse_index_base_b
; %bb.0:
	s_load_dwordx2 s[8:9], s[4:5], 0x60
	s_load_dwordx2 s[12:13], s[4:5], 0x20
	s_load_dwordx4 s[0:3], s[4:5], 0x40
	s_waitcnt lgkmcnt(0)
	s_bitcmp1_b32 s9, 0
	s_cselect_b64 s[14:15], -1, 0
	s_xor_b64 s[10:11], s[14:15], -1
	s_and_b64 vcc, exec, s[14:15]
	s_cbranch_vccnz .LBB63_2
; %bb.1:
	s_load_dword s12, s[12:13], 0x0
.LBB63_2:
	s_andn2_b64 vcc, exec, s[10:11]
	s_cbranch_vccnz .LBB63_4
; %bb.3:
	s_load_dword s2, s[2:3], 0x0
.LBB63_4:
	s_waitcnt lgkmcnt(0)
	v_cmp_eq_f32_e64 s[10:11], s12, 0
	v_cmp_eq_f32_e64 s[14:15], s2, 1.0
	s_and_b64 s[10:11], s[10:11], s[14:15]
	s_and_b64 vcc, exec, s[10:11]
	s_cbranch_vccnz .LBB63_28
; %bb.5:
	s_load_dwordx2 s[14:15], s[4:5], 0x18
	v_lshl_or_b32 v4, s6, 9, v0
	s_waitcnt lgkmcnt(0)
	v_cmp_gt_i32_e32 vcc, s15, v4
	s_and_saveexec_b64 s[6:7], vcc
	s_cbranch_execz .LBB63_28
; %bb.6:
	s_load_dwordx2 s[6:7], s[4:5], 0x58
	v_ashrrev_i32_e32 v5, 31, v4
	v_lshlrev_b64 v[1:2], 2, v[4:5]
	s_waitcnt lgkmcnt(0)
	v_mov_b32_e32 v3, s7
	v_add_co_u32_e32 v6, vcc, s6, v1
	v_addc_co_u32_e32 v7, vcc, v3, v2, vcc
	global_load_dword v3, v[6:7], off
	s_waitcnt vmcnt(0)
	v_subrev_u32_e32 v3, s8, v3
	v_cmp_lt_i32_e32 vcc, -1, v3
	s_and_b64 exec, exec, vcc
	s_cbranch_execz .LBB63_28
; %bb.7:
	s_load_dwordx4 s[8:11], s[4:5], 0x0
	s_load_dword s3, s[4:5], 0x10
	v_sub_u32_e32 v8, 0, v4
	v_max_i32_e32 v4, v4, v8
	s_load_dwordx2 s[18:19], s[4:5], 0x30
	s_waitcnt lgkmcnt(0)
	s_cmp_eq_u32 s10, 1
	s_cselect_b64 s[6:7], -1, 0
	s_cmpk_eq_i32 s8, 0x6f
	s_cselect_b64 s[16:17], -1, 0
	s_cmpk_lg_i32 s8, 0x6f
	s_cselect_b64 s[20:21], -1, 0
	s_abs_i32 s3, s3
	v_cvt_f32_u32_e32 v6, s3
	s_sub_i32 s8, 0, s3
	s_cmp_lg_u32 s10, 1
	v_rcp_iflag_f32_e32 v6, v6
	v_mul_f32_e32 v6, 0x4f7ffffe, v6
	v_cvt_u32_f32_e32 v6, v6
	v_mul_lo_u32 v7, s8, v6
	v_mul_hi_u32 v7, v6, v7
	v_add_u32_e32 v6, v6, v7
	v_mul_hi_u32 v6, v4, v6
	v_mul_lo_u32 v6, v6, s3
	v_sub_u32_e32 v4, v4, v6
	v_subrev_u32_e32 v6, s3, v4
	v_cmp_le_u32_e32 vcc, s3, v4
	v_cndmask_b32_e32 v4, v4, v6, vcc
	v_subrev_u32_e32 v6, s3, v4
	v_cmp_le_u32_e32 vcc, s3, v4
	v_cndmask_b32_e32 v4, v4, v6, vcc
	v_xor_b32_e32 v4, v4, v5
	v_sub_u32_e32 v7, v4, v5
	v_ashrrev_i32_e32 v8, 31, v7
	s_cbranch_scc0 .LBB63_11
; %bb.8:
	v_mov_b32_e32 v5, v7
	s_andn2_b64 vcc, exec, s[16:17]
	v_mov_b32_e32 v6, v8
	s_cbranch_vccnz .LBB63_10
; %bb.9:
	v_mul_lo_u32 v4, s19, v7
	v_mul_lo_u32 v9, s18, v8
	v_mad_u64_u32 v[5:6], s[22:23], s18, v7, 0
	v_add3_u32 v6, v6, v9, v4
.LBB63_10:
	s_cbranch_execz .LBB63_12
	s_branch .LBB63_15
.LBB63_11:
                                        ; implicit-def: $vgpr5_vgpr6
.LBB63_12:
	s_andn2_b64 vcc, exec, s[20:21]
	s_cbranch_vccnz .LBB63_14
; %bb.13:
	v_mul_lo_u32 v4, s19, v7
	v_mul_lo_u32 v5, s18, v8
	v_mad_u64_u32 v[7:8], s[20:21], s18, v7, 0
	v_add3_u32 v8, v8, v5, v4
.LBB63_14:
	v_mov_b32_e32 v5, v7
	v_mov_b32_e32 v6, v8
.LBB63_15:
	s_cmp_eq_u32 s11, 1
	s_cselect_b64 s[20:21], -1, 0
	s_cmpk_eq_i32 s9, 0x6f
	s_cselect_b64 s[22:23], -1, 0
	s_cmpk_lg_i32 s9, 0x6f
	s_cselect_b64 s[8:9], -1, 0
	s_cmp_lg_u32 s11, 1
	v_mov_b32_e32 v4, 0
	s_cbranch_scc0 .LBB63_19
; %bb.16:
	v_mov_b32_e32 v8, v4
	s_andn2_b64 vcc, exec, s[8:9]
	v_mov_b32_e32 v7, v3
	s_cbranch_vccnz .LBB63_18
; %bb.17:
	v_mad_u64_u32 v[7:8], s[8:9], s0, v3, 0
	v_mad_u64_u32 v[8:9], s[8:9], s1, v3, v[8:9]
.LBB63_18:
	s_cbranch_execz .LBB63_20
	s_branch .LBB63_23
.LBB63_19:
                                        ; implicit-def: $vgpr7_vgpr8
.LBB63_20:
	s_andn2_b64 vcc, exec, s[22:23]
	s_cbranch_vccnz .LBB63_22
; %bb.21:
	v_mad_u64_u32 v[7:8], s[8:9], s0, v3, 0
	v_mov_b32_e32 v4, v8
	v_mad_u64_u32 v[3:4], s[8:9], s1, v3, v[4:5]
	v_mov_b32_e32 v8, v3
	v_mov_b32_e32 v3, v7
	;; [unrolled: 1-line block ×3, first 2 shown]
.LBB63_22:
	v_mov_b32_e32 v8, v4
	v_mov_b32_e32 v7, v3
.LBB63_23:
	s_load_dwordx2 s[8:9], s[4:5], 0x50
	s_cmp_lt_i32 s14, 1
	s_cbranch_scc1 .LBB63_26
; %bb.24:
	s_load_dwordx2 s[10:11], s[4:5], 0x38
	s_load_dwordx2 s[24:25], s[4:5], 0x28
	s_xor_b64 s[4:5], s[16:17], s[6:7]
	v_lshlrev_b64 v[3:4], 1, v[7:8]
	s_and_b64 s[4:5], s[4:5], exec
	s_cselect_b32 s5, 0, s19
	s_cselect_b32 s4, 1, s18
	s_xor_b64 s[6:7], s[22:23], s[20:21]
	s_waitcnt lgkmcnt(0)
	v_mov_b32_e32 v7, s11
	v_add_co_u32_e32 v3, vcc, s10, v3
	v_lshlrev_b64 v[5:6], 1, v[5:6]
	s_and_b64 s[6:7], s[6:7], exec
	v_addc_co_u32_e32 v4, vcc, v7, v4, vcc
	s_cselect_b32 s7, s1, 0
	s_cselect_b32 s6, s0, 1
	v_mov_b32_e32 v7, s25
	v_add_co_u32_e32 v5, vcc, s24, v5
	s_lshl_b64 s[0:1], s[4:5], 1
	s_lshl_b64 s[4:5], s[6:7], 1
	v_addc_co_u32_e32 v6, vcc, v7, v6, vcc
	v_mov_b32_e32 v7, 0
	v_mov_b32_e32 v8, s1
	v_mov_b32_e32 v9, s5
.LBB63_25:                              ; =>This Inner Loop Header: Depth=1
	global_load_ushort v10, v[5:6], off
	global_load_ushort v11, v[3:4], off
	v_add_co_u32_e32 v5, vcc, s0, v5
	v_addc_co_u32_e32 v6, vcc, v6, v8, vcc
	s_add_i32 s14, s14, -1
	v_add_co_u32_e32 v3, vcc, s4, v3
	v_addc_co_u32_e32 v4, vcc, v4, v9, vcc
	s_cmp_eq_u32 s14, 0
	s_waitcnt vmcnt(0)
	v_mul_f16_e32 v10, v10, v11
	v_cvt_f32_f16_e32 v10, v10
	v_add_f32_e32 v7, v7, v10
	s_cbranch_scc0 .LBB63_25
	s_branch .LBB63_27
.LBB63_26:
	v_mov_b32_e32 v7, 0
.LBB63_27:
	v_lshlrev_b32_e32 v3, 2, v0
	s_waitcnt lgkmcnt(0)
	v_mov_b32_e32 v4, s9
	v_add_co_u32_e32 v0, vcc, s8, v1
	v_addc_co_u32_e32 v1, vcc, v4, v2, vcc
	ds_write_b32 v3, v7
	s_waitcnt lgkmcnt(0)
	s_barrier
	global_load_dword v2, v[0:1], off
	ds_read_b32 v3, v3
	s_waitcnt lgkmcnt(0)
	v_mul_f32_e32 v3, s12, v3
	s_waitcnt vmcnt(0)
	v_fmac_f32_e32 v3, s2, v2
	global_store_dword v[0:1], v3, off
.LBB63_28:
	s_endpgm
	.section	.rodata,"a",@progbits
	.p2align	6, 0x0
	.amdhsa_kernel _ZN9rocsparseL16sddmm_ell_kernelILi512ELi1EfiiDF16_DF16_fEEv20rocsparse_operation_S1_16rocsparse_order_S2_T3_S3_S3_T2_NS_24const_host_device_scalarIT1_EEPKT4_lPKT5_lS7_PT6_PKS3_21rocsparse_index_base_b
		.amdhsa_group_segment_fixed_size 2048
		.amdhsa_private_segment_fixed_size 0
		.amdhsa_kernarg_size 104
		.amdhsa_user_sgpr_count 6
		.amdhsa_user_sgpr_private_segment_buffer 1
		.amdhsa_user_sgpr_dispatch_ptr 0
		.amdhsa_user_sgpr_queue_ptr 0
		.amdhsa_user_sgpr_kernarg_segment_ptr 1
		.amdhsa_user_sgpr_dispatch_id 0
		.amdhsa_user_sgpr_flat_scratch_init 0
		.amdhsa_user_sgpr_private_segment_size 0
		.amdhsa_uses_dynamic_stack 0
		.amdhsa_system_sgpr_private_segment_wavefront_offset 0
		.amdhsa_system_sgpr_workgroup_id_x 1
		.amdhsa_system_sgpr_workgroup_id_y 0
		.amdhsa_system_sgpr_workgroup_id_z 0
		.amdhsa_system_sgpr_workgroup_info 0
		.amdhsa_system_vgpr_workitem_id 0
		.amdhsa_next_free_vgpr 12
		.amdhsa_next_free_sgpr 26
		.amdhsa_reserve_vcc 1
		.amdhsa_reserve_flat_scratch 0
		.amdhsa_float_round_mode_32 0
		.amdhsa_float_round_mode_16_64 0
		.amdhsa_float_denorm_mode_32 3
		.amdhsa_float_denorm_mode_16_64 3
		.amdhsa_dx10_clamp 1
		.amdhsa_ieee_mode 1
		.amdhsa_fp16_overflow 0
		.amdhsa_exception_fp_ieee_invalid_op 0
		.amdhsa_exception_fp_denorm_src 0
		.amdhsa_exception_fp_ieee_div_zero 0
		.amdhsa_exception_fp_ieee_overflow 0
		.amdhsa_exception_fp_ieee_underflow 0
		.amdhsa_exception_fp_ieee_inexact 0
		.amdhsa_exception_int_div_zero 0
	.end_amdhsa_kernel
	.section	.text._ZN9rocsparseL16sddmm_ell_kernelILi512ELi1EfiiDF16_DF16_fEEv20rocsparse_operation_S1_16rocsparse_order_S2_T3_S3_S3_T2_NS_24const_host_device_scalarIT1_EEPKT4_lPKT5_lS7_PT6_PKS3_21rocsparse_index_base_b,"axG",@progbits,_ZN9rocsparseL16sddmm_ell_kernelILi512ELi1EfiiDF16_DF16_fEEv20rocsparse_operation_S1_16rocsparse_order_S2_T3_S3_S3_T2_NS_24const_host_device_scalarIT1_EEPKT4_lPKT5_lS7_PT6_PKS3_21rocsparse_index_base_b,comdat
.Lfunc_end63:
	.size	_ZN9rocsparseL16sddmm_ell_kernelILi512ELi1EfiiDF16_DF16_fEEv20rocsparse_operation_S1_16rocsparse_order_S2_T3_S3_S3_T2_NS_24const_host_device_scalarIT1_EEPKT4_lPKT5_lS7_PT6_PKS3_21rocsparse_index_base_b, .Lfunc_end63-_ZN9rocsparseL16sddmm_ell_kernelILi512ELi1EfiiDF16_DF16_fEEv20rocsparse_operation_S1_16rocsparse_order_S2_T3_S3_S3_T2_NS_24const_host_device_scalarIT1_EEPKT4_lPKT5_lS7_PT6_PKS3_21rocsparse_index_base_b
                                        ; -- End function
	.set _ZN9rocsparseL16sddmm_ell_kernelILi512ELi1EfiiDF16_DF16_fEEv20rocsparse_operation_S1_16rocsparse_order_S2_T3_S3_S3_T2_NS_24const_host_device_scalarIT1_EEPKT4_lPKT5_lS7_PT6_PKS3_21rocsparse_index_base_b.num_vgpr, 12
	.set _ZN9rocsparseL16sddmm_ell_kernelILi512ELi1EfiiDF16_DF16_fEEv20rocsparse_operation_S1_16rocsparse_order_S2_T3_S3_S3_T2_NS_24const_host_device_scalarIT1_EEPKT4_lPKT5_lS7_PT6_PKS3_21rocsparse_index_base_b.num_agpr, 0
	.set _ZN9rocsparseL16sddmm_ell_kernelILi512ELi1EfiiDF16_DF16_fEEv20rocsparse_operation_S1_16rocsparse_order_S2_T3_S3_S3_T2_NS_24const_host_device_scalarIT1_EEPKT4_lPKT5_lS7_PT6_PKS3_21rocsparse_index_base_b.numbered_sgpr, 26
	.set _ZN9rocsparseL16sddmm_ell_kernelILi512ELi1EfiiDF16_DF16_fEEv20rocsparse_operation_S1_16rocsparse_order_S2_T3_S3_S3_T2_NS_24const_host_device_scalarIT1_EEPKT4_lPKT5_lS7_PT6_PKS3_21rocsparse_index_base_b.num_named_barrier, 0
	.set _ZN9rocsparseL16sddmm_ell_kernelILi512ELi1EfiiDF16_DF16_fEEv20rocsparse_operation_S1_16rocsparse_order_S2_T3_S3_S3_T2_NS_24const_host_device_scalarIT1_EEPKT4_lPKT5_lS7_PT6_PKS3_21rocsparse_index_base_b.private_seg_size, 0
	.set _ZN9rocsparseL16sddmm_ell_kernelILi512ELi1EfiiDF16_DF16_fEEv20rocsparse_operation_S1_16rocsparse_order_S2_T3_S3_S3_T2_NS_24const_host_device_scalarIT1_EEPKT4_lPKT5_lS7_PT6_PKS3_21rocsparse_index_base_b.uses_vcc, 1
	.set _ZN9rocsparseL16sddmm_ell_kernelILi512ELi1EfiiDF16_DF16_fEEv20rocsparse_operation_S1_16rocsparse_order_S2_T3_S3_S3_T2_NS_24const_host_device_scalarIT1_EEPKT4_lPKT5_lS7_PT6_PKS3_21rocsparse_index_base_b.uses_flat_scratch, 0
	.set _ZN9rocsparseL16sddmm_ell_kernelILi512ELi1EfiiDF16_DF16_fEEv20rocsparse_operation_S1_16rocsparse_order_S2_T3_S3_S3_T2_NS_24const_host_device_scalarIT1_EEPKT4_lPKT5_lS7_PT6_PKS3_21rocsparse_index_base_b.has_dyn_sized_stack, 0
	.set _ZN9rocsparseL16sddmm_ell_kernelILi512ELi1EfiiDF16_DF16_fEEv20rocsparse_operation_S1_16rocsparse_order_S2_T3_S3_S3_T2_NS_24const_host_device_scalarIT1_EEPKT4_lPKT5_lS7_PT6_PKS3_21rocsparse_index_base_b.has_recursion, 0
	.set _ZN9rocsparseL16sddmm_ell_kernelILi512ELi1EfiiDF16_DF16_fEEv20rocsparse_operation_S1_16rocsparse_order_S2_T3_S3_S3_T2_NS_24const_host_device_scalarIT1_EEPKT4_lPKT5_lS7_PT6_PKS3_21rocsparse_index_base_b.has_indirect_call, 0
	.section	.AMDGPU.csdata,"",@progbits
; Kernel info:
; codeLenInByte = 876
; TotalNumSgprs: 30
; NumVgprs: 12
; ScratchSize: 0
; MemoryBound: 0
; FloatMode: 240
; IeeeMode: 1
; LDSByteSize: 2048 bytes/workgroup (compile time only)
; SGPRBlocks: 3
; VGPRBlocks: 2
; NumSGPRsForWavesPerEU: 30
; NumVGPRsForWavesPerEU: 12
; Occupancy: 10
; WaveLimiterHint : 0
; COMPUTE_PGM_RSRC2:SCRATCH_EN: 0
; COMPUTE_PGM_RSRC2:USER_SGPR: 6
; COMPUTE_PGM_RSRC2:TRAP_HANDLER: 0
; COMPUTE_PGM_RSRC2:TGID_X_EN: 1
; COMPUTE_PGM_RSRC2:TGID_Y_EN: 0
; COMPUTE_PGM_RSRC2:TGID_Z_EN: 0
; COMPUTE_PGM_RSRC2:TIDIG_COMP_CNT: 0
	.section	.text._ZN9rocsparseL16sddmm_ell_kernelILi512ELi8EfllDF16_DF16_fEEv20rocsparse_operation_S1_16rocsparse_order_S2_T3_S3_S3_T2_NS_24const_host_device_scalarIT1_EEPKT4_lPKT5_lS7_PT6_PKS3_21rocsparse_index_base_b,"axG",@progbits,_ZN9rocsparseL16sddmm_ell_kernelILi512ELi8EfllDF16_DF16_fEEv20rocsparse_operation_S1_16rocsparse_order_S2_T3_S3_S3_T2_NS_24const_host_device_scalarIT1_EEPKT4_lPKT5_lS7_PT6_PKS3_21rocsparse_index_base_b,comdat
	.globl	_ZN9rocsparseL16sddmm_ell_kernelILi512ELi8EfllDF16_DF16_fEEv20rocsparse_operation_S1_16rocsparse_order_S2_T3_S3_S3_T2_NS_24const_host_device_scalarIT1_EEPKT4_lPKT5_lS7_PT6_PKS3_21rocsparse_index_base_b ; -- Begin function _ZN9rocsparseL16sddmm_ell_kernelILi512ELi8EfllDF16_DF16_fEEv20rocsparse_operation_S1_16rocsparse_order_S2_T3_S3_S3_T2_NS_24const_host_device_scalarIT1_EEPKT4_lPKT5_lS7_PT6_PKS3_21rocsparse_index_base_b
	.p2align	8
	.type	_ZN9rocsparseL16sddmm_ell_kernelILi512ELi8EfllDF16_DF16_fEEv20rocsparse_operation_S1_16rocsparse_order_S2_T3_S3_S3_T2_NS_24const_host_device_scalarIT1_EEPKT4_lPKT5_lS7_PT6_PKS3_21rocsparse_index_base_b,@function
_ZN9rocsparseL16sddmm_ell_kernelILi512ELi8EfllDF16_DF16_fEEv20rocsparse_operation_S1_16rocsparse_order_S2_T3_S3_S3_T2_NS_24const_host_device_scalarIT1_EEPKT4_lPKT5_lS7_PT6_PKS3_21rocsparse_index_base_b: ; @_ZN9rocsparseL16sddmm_ell_kernelILi512ELi8EfllDF16_DF16_fEEv20rocsparse_operation_S1_16rocsparse_order_S2_T3_S3_S3_T2_NS_24const_host_device_scalarIT1_EEPKT4_lPKT5_lS7_PT6_PKS3_21rocsparse_index_base_b
; %bb.0:
	s_load_dwordx2 s[18:19], s[4:5], 0x70
	s_load_dwordx2 s[16:17], s[4:5], 0x30
	s_load_dwordx4 s[8:11], s[4:5], 0x50
	s_waitcnt lgkmcnt(0)
	s_bitcmp1_b32 s19, 0
	s_cselect_b64 s[2:3], -1, 0
	s_xor_b64 s[0:1], s[2:3], -1
	s_and_b64 vcc, exec, s[2:3]
	s_cbranch_vccnz .LBB64_2
; %bb.1:
	s_load_dword s16, s[16:17], 0x0
.LBB64_2:
	s_andn2_b64 vcc, exec, s[0:1]
	s_cbranch_vccnz .LBB64_4
; %bb.3:
	s_load_dword s10, s[10:11], 0x0
.LBB64_4:
	s_waitcnt lgkmcnt(0)
	v_cmp_eq_f32_e64 s[0:1], s16, 0
	v_cmp_eq_f32_e64 s[2:3], s10, 1.0
	s_and_b64 s[0:1], s[0:1], s[2:3]
	s_and_b64 vcc, exec, s[0:1]
	s_cbranch_vccnz .LBB64_39
; %bb.5:
	s_load_dwordx4 s[12:15], s[4:5], 0x20
	v_lshrrev_b32_e32 v11, 3, v0
	v_lshl_or_b32 v1, s6, 6, v11
	v_mov_b32_e32 v2, 0
	s_waitcnt lgkmcnt(0)
	v_cmp_gt_i64_e32 vcc, s[14:15], v[1:2]
	s_and_saveexec_b64 s[0:1], vcc
	s_cbranch_execz .LBB64_39
; %bb.6:
	s_load_dwordx2 s[14:15], s[4:5], 0x10
	s_load_dwordx2 s[6:7], s[4:5], 0x68
	s_mov_b32 s0, 0
                                        ; implicit-def: $vgpr7_vgpr8
	s_waitcnt lgkmcnt(0)
	s_mov_b32 s1, s15
	s_cmp_lg_u64 s[0:1], 0
	s_cselect_b64 s[0:1], -1, 0
	s_and_saveexec_b64 s[2:3], s[0:1]
	s_xor_b64 s[20:21], exec, s[2:3]
	s_cbranch_execz .LBB64_8
; %bb.7:
	s_ashr_i32 s0, s15, 31
	s_add_u32 s2, s14, s0
	s_mov_b32 s1, s0
	s_addc_u32 s3, s15, s0
	s_xor_b64 s[22:23], s[2:3], s[0:1]
	v_cvt_f32_u32_e32 v3, s22
	v_cvt_f32_u32_e32 v4, s23
	s_sub_u32 s2, 0, s22
	s_subb_u32 s3, 0, s23
	v_add_co_u32_e32 v7, vcc, 0, v1
	v_madmk_f32 v3, v4, 0x4f800000, v3
	v_rcp_f32_e32 v3, v3
	v_mul_f32_e32 v3, 0x5f7ffffc, v3
	v_mul_f32_e32 v4, 0x2f800000, v3
	v_trunc_f32_e32 v4, v4
	v_madmk_f32 v3, v4, 0xcf800000, v3
	v_cvt_u32_f32_e32 v4, v4
	v_cvt_u32_f32_e32 v3, v3
	v_readfirstlane_b32 s11, v4
	v_readfirstlane_b32 s0, v3
	s_mul_i32 s1, s2, s11
	s_mul_hi_u32 s17, s2, s0
	s_mul_i32 s15, s3, s0
	s_add_i32 s1, s17, s1
	s_add_i32 s1, s1, s15
	s_mul_i32 s19, s2, s0
	s_mul_i32 s17, s0, s1
	s_mul_hi_u32 s24, s0, s19
	s_mul_hi_u32 s15, s0, s1
	s_add_u32 s17, s24, s17
	s_addc_u32 s15, 0, s15
	s_mul_hi_u32 s25, s11, s19
	s_mul_i32 s19, s11, s19
	s_add_u32 s17, s17, s19
	s_mul_hi_u32 s24, s11, s1
	s_addc_u32 s15, s15, s25
	s_addc_u32 s17, s24, 0
	s_mul_i32 s1, s11, s1
	s_add_u32 s1, s15, s1
	s_addc_u32 s15, 0, s17
	s_add_u32 s17, s0, s1
	s_cselect_b64 s[0:1], -1, 0
	s_cmp_lg_u64 s[0:1], 0
	s_addc_u32 s11, s11, s15
	s_mul_i32 s0, s2, s11
	s_mul_hi_u32 s1, s2, s17
	s_add_i32 s0, s1, s0
	s_mul_i32 s3, s3, s17
	s_add_i32 s0, s0, s3
	s_mul_i32 s2, s2, s17
	s_mul_hi_u32 s3, s11, s2
	s_mul_i32 s15, s11, s2
	s_mul_i32 s24, s17, s0
	s_mul_hi_u32 s2, s17, s2
	s_mul_hi_u32 s19, s17, s0
	s_add_u32 s2, s2, s24
	s_addc_u32 s19, 0, s19
	s_add_u32 s2, s2, s15
	s_mul_hi_u32 s1, s11, s0
	s_addc_u32 s2, s19, s3
	s_addc_u32 s1, s1, 0
	s_mul_i32 s0, s11, s0
	s_add_u32 s0, s2, s0
	s_addc_u32 s2, 0, s1
	s_add_u32 s3, s17, s0
	s_cselect_b64 s[0:1], -1, 0
	s_cmp_lg_u64 s[0:1], 0
	s_addc_u32 s2, s11, s2
	v_mad_u64_u32 v[3:4], s[0:1], v7, s2, 0
	v_mul_hi_u32 v5, v7, s3
	v_addc_co_u32_e64 v8, s[0:1], 0, 0, vcc
	v_add_co_u32_e32 v9, vcc, v5, v3
	v_addc_co_u32_e32 v10, vcc, 0, v4, vcc
	v_mad_u64_u32 v[3:4], s[0:1], v8, s3, 0
	v_mad_u64_u32 v[5:6], s[0:1], v8, s2, 0
	v_add_co_u32_e32 v3, vcc, v9, v3
	v_addc_co_u32_e32 v3, vcc, v10, v4, vcc
	v_addc_co_u32_e32 v4, vcc, 0, v6, vcc
	v_add_co_u32_e32 v3, vcc, v3, v5
	v_addc_co_u32_e32 v4, vcc, 0, v4, vcc
	v_mul_lo_u32 v5, s23, v3
	v_mul_lo_u32 v6, s22, v4
	v_mad_u64_u32 v[3:4], s[0:1], s22, v3, 0
	v_add3_u32 v4, v4, v6, v5
	v_sub_u32_e32 v5, v8, v4
	v_mov_b32_e32 v6, s23
	v_sub_co_u32_e32 v3, vcc, v7, v3
	v_subb_co_u32_e64 v5, s[0:1], v5, v6, vcc
	v_subrev_co_u32_e64 v7, s[0:1], s22, v3
	v_subbrev_co_u32_e64 v9, s[2:3], 0, v5, s[0:1]
	v_cmp_le_u32_e64 s[2:3], s23, v9
	v_cndmask_b32_e64 v10, 0, -1, s[2:3]
	v_cmp_le_u32_e64 s[2:3], s22, v7
	v_subb_co_u32_e64 v5, s[0:1], v5, v6, s[0:1]
	v_cndmask_b32_e64 v12, 0, -1, s[2:3]
	v_cmp_eq_u32_e64 s[2:3], s23, v9
	v_subrev_co_u32_e64 v6, s[0:1], s22, v7
	v_subb_co_u32_e32 v4, vcc, v8, v4, vcc
	v_cndmask_b32_e64 v10, v10, v12, s[2:3]
	v_subbrev_co_u32_e64 v5, s[0:1], 0, v5, s[0:1]
	v_cmp_le_u32_e32 vcc, s23, v4
	v_cmp_ne_u32_e64 s[0:1], 0, v10
	v_cndmask_b32_e64 v8, 0, -1, vcc
	v_cmp_le_u32_e32 vcc, s22, v3
	v_cndmask_b32_e64 v5, v9, v5, s[0:1]
	v_cndmask_b32_e64 v9, 0, -1, vcc
	v_cmp_eq_u32_e32 vcc, s23, v4
	v_cndmask_b32_e32 v8, v8, v9, vcc
	v_cmp_ne_u32_e32 vcc, 0, v8
	v_cndmask_b32_e32 v4, v4, v5, vcc
	v_cndmask_b32_e64 v5, v7, v6, s[0:1]
	v_cndmask_b32_e32 v3, v3, v5, vcc
	v_subrev_co_u32_e32 v7, vcc, 0, v3
	v_subbrev_co_u32_e32 v8, vcc, 0, v4, vcc
.LBB64_8:
	s_andn2_saveexec_b64 s[0:1], s[20:21]
	s_cbranch_execz .LBB64_10
; %bb.9:
	v_cvt_f32_u32_e32 v3, s14
	s_sub_i32 s2, 0, s14
	v_mov_b32_e32 v8, 0
	v_rcp_iflag_f32_e32 v3, v3
	v_mul_f32_e32 v3, 0x4f7ffffe, v3
	v_cvt_u32_f32_e32 v3, v3
	v_mul_lo_u32 v4, s2, v3
	v_mul_hi_u32 v4, v3, v4
	v_add_u32_e32 v3, v3, v4
	v_mul_hi_u32 v3, v1, v3
	v_mul_lo_u32 v3, v3, s14
	v_sub_u32_e32 v3, v1, v3
	v_subrev_u32_e32 v4, s14, v3
	v_cmp_le_u32_e32 vcc, s14, v3
	v_cndmask_b32_e32 v3, v3, v4, vcc
	v_subrev_u32_e32 v4, s14, v3
	v_cmp_le_u32_e32 vcc, s14, v3
	v_cndmask_b32_e32 v7, v3, v4, vcc
.LBB64_10:
	s_or_b64 exec, exec, s[0:1]
	v_lshlrev_b64 v[3:4], 3, v[1:2]
	v_mov_b32_e32 v5, s7
	v_add_co_u32_e32 v3, vcc, s6, v3
	v_addc_co_u32_e32 v4, vcc, v5, v4, vcc
	global_load_dwordx2 v[3:4], v[3:4], off
	s_mov_b64 s[22:23], -1
	s_waitcnt vmcnt(0)
	v_subrev_co_u32_e32 v3, vcc, s18, v3
	v_subbrev_co_u32_e32 v4, vcc, 0, v4, vcc
	v_cmp_lt_i64_e32 vcc, -1, v[3:4]
	s_and_b64 exec, exec, vcc
	s_cbranch_execz .LBB64_39
; %bb.11:
	s_load_dwordx4 s[0:3], s[4:5], 0x0
	s_load_dwordx2 s[6:7], s[4:5], 0x40
                                        ; implicit-def: $vgpr5_vgpr6
	s_waitcnt lgkmcnt(0)
	s_cmp_eq_u32 s2, 1
	s_cselect_b64 s[14:15], -1, 0
	s_cmpk_eq_i32 s0, 0x6f
	s_cselect_b64 s[18:19], -1, 0
	s_cmpk_lg_i32 s0, 0x6f
	s_cselect_b64 s[20:21], -1, 0
	s_cmp_lg_u32 s2, 1
	s_cbranch_scc0 .LBB64_15
; %bb.12:
	v_mov_b32_e32 v5, v7
	s_andn2_b64 vcc, exec, s[18:19]
	v_mov_b32_e32 v6, v8
	s_cbranch_vccnz .LBB64_14
; %bb.13:
	v_mul_lo_u32 v9, v8, s6
	v_mul_lo_u32 v10, v7, s7
	v_mad_u64_u32 v[5:6], s[22:23], v7, s6, 0
	v_add3_u32 v6, v6, v10, v9
.LBB64_14:
	s_mov_b64 s[22:23], 0
.LBB64_15:
	s_andn2_b64 vcc, exec, s[22:23]
	s_cbranch_vccnz .LBB64_19
; %bb.16:
	s_andn2_b64 vcc, exec, s[20:21]
	s_cbranch_vccnz .LBB64_18
; %bb.17:
	v_mul_lo_u32 v5, v8, s6
	v_mul_lo_u32 v6, v7, s7
	v_mad_u64_u32 v[7:8], s[20:21], v7, s6, 0
	v_add3_u32 v8, v8, v6, v5
.LBB64_18:
	v_mov_b32_e32 v5, v7
	v_mov_b32_e32 v6, v8
.LBB64_19:
	s_cmp_eq_u32 s3, 1
	s_cselect_b64 s[22:23], -1, 0
	s_cmpk_eq_i32 s1, 0x6f
	s_cselect_b64 s[24:25], -1, 0
	s_cmpk_lg_i32 s1, 0x6f
	s_cselect_b64 s[0:1], -1, 0
	s_cmp_lg_u32 s3, 1
	s_cbranch_scc0 .LBB64_23
; %bb.20:
	v_mov_b32_e32 v8, v4
	s_andn2_b64 vcc, exec, s[0:1]
	v_mov_b32_e32 v7, v3
	s_cbranch_vccnz .LBB64_22
; %bb.21:
	v_mul_lo_u32 v9, v4, s8
	v_mul_lo_u32 v10, v3, s9
	v_mad_u64_u32 v[7:8], s[0:1], v3, s8, 0
	v_add3_u32 v8, v8, v10, v9
.LBB64_22:
	s_cbranch_execz .LBB64_24
	s_branch .LBB64_27
.LBB64_23:
                                        ; implicit-def: $vgpr7_vgpr8
.LBB64_24:
	s_andn2_b64 vcc, exec, s[24:25]
	s_cbranch_vccnz .LBB64_26
; %bb.25:
	v_mul_lo_u32 v7, v4, s8
	v_mul_lo_u32 v8, v3, s9
	v_mad_u64_u32 v[3:4], s[0:1], v3, s8, 0
	v_add3_u32 v4, v4, v8, v7
.LBB64_26:
	v_mov_b32_e32 v8, v4
	v_mov_b32_e32 v7, v3
.LBB64_27:
	s_load_dwordx2 s[2:3], s[4:5], 0x60
	v_and_b32_e32 v3, 7, v0
	v_mov_b32_e32 v4, 0
	v_cmp_gt_i64_e32 vcc, s[12:13], v[3:4]
	s_and_saveexec_b64 s[20:21], vcc
	s_cbranch_execz .LBB64_31
; %bb.28:
	s_xor_b64 s[0:1], s[18:19], s[14:15]
	s_and_b64 s[0:1], s[0:1], exec
	s_cselect_b32 s1, 0, s7
	s_cselect_b32 s0, 1, s6
	s_xor_b64 s[6:7], s[24:25], s[22:23]
	s_and_b64 s[6:7], s[6:7], exec
	s_cselect_b32 s6, s8, 1
	v_mad_u64_u32 v[9:10], s[14:15], s6, v3, 0
	s_cselect_b32 s7, s9, 0
	v_lshlrev_b64 v[7:8], 1, v[7:8]
	v_mov_b32_e32 v0, v10
	v_mad_u64_u32 v[12:13], s[8:9], s7, v3, v[0:1]
	s_load_dwordx2 s[8:9], s[4:5], 0x38
	s_load_dwordx2 s[14:15], s[4:5], 0x48
	v_lshlrev_b64 v[5:6], 1, v[5:6]
	v_mov_b32_e32 v10, v12
	v_mad_u64_u32 v[12:13], s[4:5], s0, v3, 0
	v_lshlrev_b64 v[9:10], 1, v[9:10]
	s_waitcnt lgkmcnt(0)
	v_mov_b32_e32 v14, s15
	v_add_co_u32_e32 v7, vcc, v9, v7
	v_mov_b32_e32 v0, v13
	v_addc_co_u32_e32 v8, vcc, v10, v8, vcc
	v_mad_u64_u32 v[9:10], s[4:5], s1, v3, v[0:1]
	v_add_co_u32_e32 v7, vcc, s14, v7
	v_mov_b32_e32 v13, v9
	v_lshlrev_b64 v[9:10], 1, v[12:13]
	v_addc_co_u32_e32 v8, vcc, v14, v8, vcc
	v_add_co_u32_e32 v0, vcc, v9, v5
	v_addc_co_u32_e32 v6, vcc, v10, v6, vcc
	v_mov_b32_e32 v9, s9
	v_add_co_u32_e32 v5, vcc, s8, v0
	v_addc_co_u32_e32 v6, vcc, v9, v6, vcc
	v_mov_b32_e32 v0, 0
	v_mov_b32_e32 v10, v4
	s_lshl_b64 s[4:5], s[6:7], 4
	s_lshl_b64 s[6:7], s[0:1], 4
	s_mov_b64 s[8:9], 0
	v_mov_b32_e32 v9, v3
	v_mov_b32_e32 v4, v0
.LBB64_29:                              ; =>This Inner Loop Header: Depth=1
	global_load_ushort v0, v[5:6], off
	global_load_ushort v12, v[7:8], off
	v_add_co_u32_e32 v9, vcc, 8, v9
	v_mov_b32_e32 v13, s5
	v_add_co_u32_e64 v7, s[0:1], s4, v7
	v_addc_co_u32_e32 v10, vcc, 0, v10, vcc
	v_addc_co_u32_e64 v8, s[0:1], v8, v13, s[0:1]
	v_cmp_le_i64_e64 s[0:1], s[12:13], v[9:10]
	v_mov_b32_e32 v14, s7
	v_add_co_u32_e32 v5, vcc, s6, v5
	v_addc_co_u32_e32 v6, vcc, v6, v14, vcc
	s_or_b64 s[8:9], s[0:1], s[8:9]
	s_waitcnt vmcnt(0)
	v_mul_f16_e32 v0, v0, v12
	v_cvt_f32_f16_e32 v0, v0
	v_add_f32_e32 v4, v4, v0
	s_andn2_b64 exec, exec, s[8:9]
	s_cbranch_execnz .LBB64_29
; %bb.30:
	s_or_b64 exec, exec, s[8:9]
.LBB64_31:
	s_or_b64 exec, exec, s[20:21]
	v_lshlrev_b32_e32 v0, 5, v11
	v_lshl_or_b32 v5, v3, 2, v0
	v_cmp_gt_u32_e32 vcc, 4, v3
	ds_write_b32 v5, v4
	s_waitcnt lgkmcnt(0)
	s_barrier
	s_and_saveexec_b64 s[0:1], vcc
	s_cbranch_execz .LBB64_33
; %bb.32:
	ds_read2_b32 v[6:7], v5 offset1:4
	s_waitcnt lgkmcnt(0)
	v_add_f32_e32 v4, v7, v6
	ds_write_b32 v5, v4
.LBB64_33:
	s_or_b64 exec, exec, s[0:1]
	v_cmp_gt_u32_e32 vcc, 2, v3
	s_waitcnt lgkmcnt(0)
	s_barrier
	s_and_saveexec_b64 s[0:1], vcc
	s_cbranch_execz .LBB64_35
; %bb.34:
	ds_read2_b32 v[6:7], v5 offset1:2
	s_waitcnt lgkmcnt(0)
	v_add_f32_e32 v4, v7, v6
	ds_write_b32 v5, v4
.LBB64_35:
	s_or_b64 exec, exec, s[0:1]
	v_cmp_eq_u32_e32 vcc, 0, v3
	s_waitcnt lgkmcnt(0)
	s_barrier
	s_and_saveexec_b64 s[0:1], vcc
	s_cbranch_execz .LBB64_37
; %bb.36:
	ds_read2_b32 v[3:4], v5 offset1:1
	s_waitcnt lgkmcnt(0)
	v_add_f32_e32 v3, v4, v3
	ds_write_b32 v5, v3
.LBB64_37:
	s_or_b64 exec, exec, s[0:1]
	s_waitcnt lgkmcnt(0)
	s_barrier
	s_and_b64 exec, exec, vcc
	s_cbranch_execz .LBB64_39
; %bb.38:
	v_lshlrev_b64 v[1:2], 2, v[1:2]
	v_mov_b32_e32 v3, s3
	v_add_co_u32_e32 v1, vcc, s2, v1
	v_addc_co_u32_e32 v2, vcc, v3, v2, vcc
	global_load_dword v3, v[1:2], off
	ds_read_b32 v0, v0
	s_waitcnt lgkmcnt(0)
	v_mul_f32_e32 v0, s16, v0
	s_waitcnt vmcnt(0)
	v_fmac_f32_e32 v0, s10, v3
	global_store_dword v[1:2], v0, off
.LBB64_39:
	s_endpgm
	.section	.rodata,"a",@progbits
	.p2align	6, 0x0
	.amdhsa_kernel _ZN9rocsparseL16sddmm_ell_kernelILi512ELi8EfllDF16_DF16_fEEv20rocsparse_operation_S1_16rocsparse_order_S2_T3_S3_S3_T2_NS_24const_host_device_scalarIT1_EEPKT4_lPKT5_lS7_PT6_PKS3_21rocsparse_index_base_b
		.amdhsa_group_segment_fixed_size 2048
		.amdhsa_private_segment_fixed_size 0
		.amdhsa_kernarg_size 120
		.amdhsa_user_sgpr_count 6
		.amdhsa_user_sgpr_private_segment_buffer 1
		.amdhsa_user_sgpr_dispatch_ptr 0
		.amdhsa_user_sgpr_queue_ptr 0
		.amdhsa_user_sgpr_kernarg_segment_ptr 1
		.amdhsa_user_sgpr_dispatch_id 0
		.amdhsa_user_sgpr_flat_scratch_init 0
		.amdhsa_user_sgpr_private_segment_size 0
		.amdhsa_uses_dynamic_stack 0
		.amdhsa_system_sgpr_private_segment_wavefront_offset 0
		.amdhsa_system_sgpr_workgroup_id_x 1
		.amdhsa_system_sgpr_workgroup_id_y 0
		.amdhsa_system_sgpr_workgroup_id_z 0
		.amdhsa_system_sgpr_workgroup_info 0
		.amdhsa_system_vgpr_workitem_id 0
		.amdhsa_next_free_vgpr 15
		.amdhsa_next_free_sgpr 26
		.amdhsa_reserve_vcc 1
		.amdhsa_reserve_flat_scratch 0
		.amdhsa_float_round_mode_32 0
		.amdhsa_float_round_mode_16_64 0
		.amdhsa_float_denorm_mode_32 3
		.amdhsa_float_denorm_mode_16_64 3
		.amdhsa_dx10_clamp 1
		.amdhsa_ieee_mode 1
		.amdhsa_fp16_overflow 0
		.amdhsa_exception_fp_ieee_invalid_op 0
		.amdhsa_exception_fp_denorm_src 0
		.amdhsa_exception_fp_ieee_div_zero 0
		.amdhsa_exception_fp_ieee_overflow 0
		.amdhsa_exception_fp_ieee_underflow 0
		.amdhsa_exception_fp_ieee_inexact 0
		.amdhsa_exception_int_div_zero 0
	.end_amdhsa_kernel
	.section	.text._ZN9rocsparseL16sddmm_ell_kernelILi512ELi8EfllDF16_DF16_fEEv20rocsparse_operation_S1_16rocsparse_order_S2_T3_S3_S3_T2_NS_24const_host_device_scalarIT1_EEPKT4_lPKT5_lS7_PT6_PKS3_21rocsparse_index_base_b,"axG",@progbits,_ZN9rocsparseL16sddmm_ell_kernelILi512ELi8EfllDF16_DF16_fEEv20rocsparse_operation_S1_16rocsparse_order_S2_T3_S3_S3_T2_NS_24const_host_device_scalarIT1_EEPKT4_lPKT5_lS7_PT6_PKS3_21rocsparse_index_base_b,comdat
.Lfunc_end64:
	.size	_ZN9rocsparseL16sddmm_ell_kernelILi512ELi8EfllDF16_DF16_fEEv20rocsparse_operation_S1_16rocsparse_order_S2_T3_S3_S3_T2_NS_24const_host_device_scalarIT1_EEPKT4_lPKT5_lS7_PT6_PKS3_21rocsparse_index_base_b, .Lfunc_end64-_ZN9rocsparseL16sddmm_ell_kernelILi512ELi8EfllDF16_DF16_fEEv20rocsparse_operation_S1_16rocsparse_order_S2_T3_S3_S3_T2_NS_24const_host_device_scalarIT1_EEPKT4_lPKT5_lS7_PT6_PKS3_21rocsparse_index_base_b
                                        ; -- End function
	.set _ZN9rocsparseL16sddmm_ell_kernelILi512ELi8EfllDF16_DF16_fEEv20rocsparse_operation_S1_16rocsparse_order_S2_T3_S3_S3_T2_NS_24const_host_device_scalarIT1_EEPKT4_lPKT5_lS7_PT6_PKS3_21rocsparse_index_base_b.num_vgpr, 15
	.set _ZN9rocsparseL16sddmm_ell_kernelILi512ELi8EfllDF16_DF16_fEEv20rocsparse_operation_S1_16rocsparse_order_S2_T3_S3_S3_T2_NS_24const_host_device_scalarIT1_EEPKT4_lPKT5_lS7_PT6_PKS3_21rocsparse_index_base_b.num_agpr, 0
	.set _ZN9rocsparseL16sddmm_ell_kernelILi512ELi8EfllDF16_DF16_fEEv20rocsparse_operation_S1_16rocsparse_order_S2_T3_S3_S3_T2_NS_24const_host_device_scalarIT1_EEPKT4_lPKT5_lS7_PT6_PKS3_21rocsparse_index_base_b.numbered_sgpr, 26
	.set _ZN9rocsparseL16sddmm_ell_kernelILi512ELi8EfllDF16_DF16_fEEv20rocsparse_operation_S1_16rocsparse_order_S2_T3_S3_S3_T2_NS_24const_host_device_scalarIT1_EEPKT4_lPKT5_lS7_PT6_PKS3_21rocsparse_index_base_b.num_named_barrier, 0
	.set _ZN9rocsparseL16sddmm_ell_kernelILi512ELi8EfllDF16_DF16_fEEv20rocsparse_operation_S1_16rocsparse_order_S2_T3_S3_S3_T2_NS_24const_host_device_scalarIT1_EEPKT4_lPKT5_lS7_PT6_PKS3_21rocsparse_index_base_b.private_seg_size, 0
	.set _ZN9rocsparseL16sddmm_ell_kernelILi512ELi8EfllDF16_DF16_fEEv20rocsparse_operation_S1_16rocsparse_order_S2_T3_S3_S3_T2_NS_24const_host_device_scalarIT1_EEPKT4_lPKT5_lS7_PT6_PKS3_21rocsparse_index_base_b.uses_vcc, 1
	.set _ZN9rocsparseL16sddmm_ell_kernelILi512ELi8EfllDF16_DF16_fEEv20rocsparse_operation_S1_16rocsparse_order_S2_T3_S3_S3_T2_NS_24const_host_device_scalarIT1_EEPKT4_lPKT5_lS7_PT6_PKS3_21rocsparse_index_base_b.uses_flat_scratch, 0
	.set _ZN9rocsparseL16sddmm_ell_kernelILi512ELi8EfllDF16_DF16_fEEv20rocsparse_operation_S1_16rocsparse_order_S2_T3_S3_S3_T2_NS_24const_host_device_scalarIT1_EEPKT4_lPKT5_lS7_PT6_PKS3_21rocsparse_index_base_b.has_dyn_sized_stack, 0
	.set _ZN9rocsparseL16sddmm_ell_kernelILi512ELi8EfllDF16_DF16_fEEv20rocsparse_operation_S1_16rocsparse_order_S2_T3_S3_S3_T2_NS_24const_host_device_scalarIT1_EEPKT4_lPKT5_lS7_PT6_PKS3_21rocsparse_index_base_b.has_recursion, 0
	.set _ZN9rocsparseL16sddmm_ell_kernelILi512ELi8EfllDF16_DF16_fEEv20rocsparse_operation_S1_16rocsparse_order_S2_T3_S3_S3_T2_NS_24const_host_device_scalarIT1_EEPKT4_lPKT5_lS7_PT6_PKS3_21rocsparse_index_base_b.has_indirect_call, 0
	.section	.AMDGPU.csdata,"",@progbits
; Kernel info:
; codeLenInByte = 1804
; TotalNumSgprs: 30
; NumVgprs: 15
; ScratchSize: 0
; MemoryBound: 0
; FloatMode: 240
; IeeeMode: 1
; LDSByteSize: 2048 bytes/workgroup (compile time only)
; SGPRBlocks: 3
; VGPRBlocks: 3
; NumSGPRsForWavesPerEU: 30
; NumVGPRsForWavesPerEU: 15
; Occupancy: 10
; WaveLimiterHint : 0
; COMPUTE_PGM_RSRC2:SCRATCH_EN: 0
; COMPUTE_PGM_RSRC2:USER_SGPR: 6
; COMPUTE_PGM_RSRC2:TRAP_HANDLER: 0
; COMPUTE_PGM_RSRC2:TGID_X_EN: 1
; COMPUTE_PGM_RSRC2:TGID_Y_EN: 0
; COMPUTE_PGM_RSRC2:TGID_Z_EN: 0
; COMPUTE_PGM_RSRC2:TIDIG_COMP_CNT: 0
	.section	.text._ZN9rocsparseL16sddmm_ell_kernelILi512ELi4EfllDF16_DF16_fEEv20rocsparse_operation_S1_16rocsparse_order_S2_T3_S3_S3_T2_NS_24const_host_device_scalarIT1_EEPKT4_lPKT5_lS7_PT6_PKS3_21rocsparse_index_base_b,"axG",@progbits,_ZN9rocsparseL16sddmm_ell_kernelILi512ELi4EfllDF16_DF16_fEEv20rocsparse_operation_S1_16rocsparse_order_S2_T3_S3_S3_T2_NS_24const_host_device_scalarIT1_EEPKT4_lPKT5_lS7_PT6_PKS3_21rocsparse_index_base_b,comdat
	.globl	_ZN9rocsparseL16sddmm_ell_kernelILi512ELi4EfllDF16_DF16_fEEv20rocsparse_operation_S1_16rocsparse_order_S2_T3_S3_S3_T2_NS_24const_host_device_scalarIT1_EEPKT4_lPKT5_lS7_PT6_PKS3_21rocsparse_index_base_b ; -- Begin function _ZN9rocsparseL16sddmm_ell_kernelILi512ELi4EfllDF16_DF16_fEEv20rocsparse_operation_S1_16rocsparse_order_S2_T3_S3_S3_T2_NS_24const_host_device_scalarIT1_EEPKT4_lPKT5_lS7_PT6_PKS3_21rocsparse_index_base_b
	.p2align	8
	.type	_ZN9rocsparseL16sddmm_ell_kernelILi512ELi4EfllDF16_DF16_fEEv20rocsparse_operation_S1_16rocsparse_order_S2_T3_S3_S3_T2_NS_24const_host_device_scalarIT1_EEPKT4_lPKT5_lS7_PT6_PKS3_21rocsparse_index_base_b,@function
_ZN9rocsparseL16sddmm_ell_kernelILi512ELi4EfllDF16_DF16_fEEv20rocsparse_operation_S1_16rocsparse_order_S2_T3_S3_S3_T2_NS_24const_host_device_scalarIT1_EEPKT4_lPKT5_lS7_PT6_PKS3_21rocsparse_index_base_b: ; @_ZN9rocsparseL16sddmm_ell_kernelILi512ELi4EfllDF16_DF16_fEEv20rocsparse_operation_S1_16rocsparse_order_S2_T3_S3_S3_T2_NS_24const_host_device_scalarIT1_EEPKT4_lPKT5_lS7_PT6_PKS3_21rocsparse_index_base_b
; %bb.0:
	s_load_dwordx2 s[18:19], s[4:5], 0x70
	s_load_dwordx2 s[16:17], s[4:5], 0x30
	s_load_dwordx4 s[8:11], s[4:5], 0x50
	s_waitcnt lgkmcnt(0)
	s_bitcmp1_b32 s19, 0
	s_cselect_b64 s[2:3], -1, 0
	s_xor_b64 s[0:1], s[2:3], -1
	s_and_b64 vcc, exec, s[2:3]
	s_cbranch_vccnz .LBB65_2
; %bb.1:
	s_load_dword s16, s[16:17], 0x0
.LBB65_2:
	s_andn2_b64 vcc, exec, s[0:1]
	s_cbranch_vccnz .LBB65_4
; %bb.3:
	s_load_dword s10, s[10:11], 0x0
.LBB65_4:
	s_waitcnt lgkmcnt(0)
	v_cmp_eq_f32_e64 s[0:1], s16, 0
	v_cmp_eq_f32_e64 s[2:3], s10, 1.0
	s_and_b64 s[0:1], s[0:1], s[2:3]
	s_and_b64 vcc, exec, s[0:1]
	s_cbranch_vccnz .LBB65_37
; %bb.5:
	s_load_dwordx4 s[12:15], s[4:5], 0x20
	v_lshrrev_b32_e32 v11, 2, v0
	v_lshl_or_b32 v1, s6, 7, v11
	v_mov_b32_e32 v2, 0
	s_waitcnt lgkmcnt(0)
	v_cmp_gt_i64_e32 vcc, s[14:15], v[1:2]
	s_and_saveexec_b64 s[0:1], vcc
	s_cbranch_execz .LBB65_37
; %bb.6:
	s_load_dwordx2 s[14:15], s[4:5], 0x10
	s_load_dwordx2 s[6:7], s[4:5], 0x68
	s_mov_b32 s0, 0
                                        ; implicit-def: $vgpr7_vgpr8
	s_waitcnt lgkmcnt(0)
	s_mov_b32 s1, s15
	s_cmp_lg_u64 s[0:1], 0
	s_cselect_b64 s[0:1], -1, 0
	s_and_saveexec_b64 s[2:3], s[0:1]
	s_xor_b64 s[20:21], exec, s[2:3]
	s_cbranch_execz .LBB65_8
; %bb.7:
	s_ashr_i32 s0, s15, 31
	s_add_u32 s2, s14, s0
	s_mov_b32 s1, s0
	s_addc_u32 s3, s15, s0
	s_xor_b64 s[22:23], s[2:3], s[0:1]
	v_cvt_f32_u32_e32 v3, s22
	v_cvt_f32_u32_e32 v4, s23
	s_sub_u32 s2, 0, s22
	s_subb_u32 s3, 0, s23
	v_add_co_u32_e32 v7, vcc, 0, v1
	v_madmk_f32 v3, v4, 0x4f800000, v3
	v_rcp_f32_e32 v3, v3
	v_mul_f32_e32 v3, 0x5f7ffffc, v3
	v_mul_f32_e32 v4, 0x2f800000, v3
	v_trunc_f32_e32 v4, v4
	v_madmk_f32 v3, v4, 0xcf800000, v3
	v_cvt_u32_f32_e32 v4, v4
	v_cvt_u32_f32_e32 v3, v3
	v_readfirstlane_b32 s11, v4
	v_readfirstlane_b32 s0, v3
	s_mul_i32 s1, s2, s11
	s_mul_hi_u32 s17, s2, s0
	s_mul_i32 s15, s3, s0
	s_add_i32 s1, s17, s1
	s_add_i32 s1, s1, s15
	s_mul_i32 s19, s2, s0
	s_mul_i32 s17, s0, s1
	s_mul_hi_u32 s24, s0, s19
	s_mul_hi_u32 s15, s0, s1
	s_add_u32 s17, s24, s17
	s_addc_u32 s15, 0, s15
	s_mul_hi_u32 s25, s11, s19
	s_mul_i32 s19, s11, s19
	s_add_u32 s17, s17, s19
	s_mul_hi_u32 s24, s11, s1
	s_addc_u32 s15, s15, s25
	s_addc_u32 s17, s24, 0
	s_mul_i32 s1, s11, s1
	s_add_u32 s1, s15, s1
	s_addc_u32 s15, 0, s17
	s_add_u32 s17, s0, s1
	s_cselect_b64 s[0:1], -1, 0
	s_cmp_lg_u64 s[0:1], 0
	s_addc_u32 s11, s11, s15
	s_mul_i32 s0, s2, s11
	s_mul_hi_u32 s1, s2, s17
	s_add_i32 s0, s1, s0
	s_mul_i32 s3, s3, s17
	s_add_i32 s0, s0, s3
	s_mul_i32 s2, s2, s17
	s_mul_hi_u32 s3, s11, s2
	s_mul_i32 s15, s11, s2
	s_mul_i32 s24, s17, s0
	s_mul_hi_u32 s2, s17, s2
	s_mul_hi_u32 s19, s17, s0
	s_add_u32 s2, s2, s24
	s_addc_u32 s19, 0, s19
	s_add_u32 s2, s2, s15
	s_mul_hi_u32 s1, s11, s0
	s_addc_u32 s2, s19, s3
	s_addc_u32 s1, s1, 0
	s_mul_i32 s0, s11, s0
	s_add_u32 s0, s2, s0
	s_addc_u32 s2, 0, s1
	s_add_u32 s3, s17, s0
	s_cselect_b64 s[0:1], -1, 0
	s_cmp_lg_u64 s[0:1], 0
	s_addc_u32 s2, s11, s2
	v_mad_u64_u32 v[3:4], s[0:1], v7, s2, 0
	v_mul_hi_u32 v5, v7, s3
	v_addc_co_u32_e64 v8, s[0:1], 0, 0, vcc
	v_add_co_u32_e32 v9, vcc, v5, v3
	v_addc_co_u32_e32 v10, vcc, 0, v4, vcc
	v_mad_u64_u32 v[3:4], s[0:1], v8, s3, 0
	v_mad_u64_u32 v[5:6], s[0:1], v8, s2, 0
	v_add_co_u32_e32 v3, vcc, v9, v3
	v_addc_co_u32_e32 v3, vcc, v10, v4, vcc
	v_addc_co_u32_e32 v4, vcc, 0, v6, vcc
	v_add_co_u32_e32 v3, vcc, v3, v5
	v_addc_co_u32_e32 v4, vcc, 0, v4, vcc
	v_mul_lo_u32 v5, s23, v3
	v_mul_lo_u32 v6, s22, v4
	v_mad_u64_u32 v[3:4], s[0:1], s22, v3, 0
	v_add3_u32 v4, v4, v6, v5
	v_sub_u32_e32 v5, v8, v4
	v_mov_b32_e32 v6, s23
	v_sub_co_u32_e32 v3, vcc, v7, v3
	v_subb_co_u32_e64 v5, s[0:1], v5, v6, vcc
	v_subrev_co_u32_e64 v7, s[0:1], s22, v3
	v_subbrev_co_u32_e64 v9, s[2:3], 0, v5, s[0:1]
	v_cmp_le_u32_e64 s[2:3], s23, v9
	v_cndmask_b32_e64 v10, 0, -1, s[2:3]
	v_cmp_le_u32_e64 s[2:3], s22, v7
	v_subb_co_u32_e64 v5, s[0:1], v5, v6, s[0:1]
	v_cndmask_b32_e64 v12, 0, -1, s[2:3]
	v_cmp_eq_u32_e64 s[2:3], s23, v9
	v_subrev_co_u32_e64 v6, s[0:1], s22, v7
	v_subb_co_u32_e32 v4, vcc, v8, v4, vcc
	v_cndmask_b32_e64 v10, v10, v12, s[2:3]
	v_subbrev_co_u32_e64 v5, s[0:1], 0, v5, s[0:1]
	v_cmp_le_u32_e32 vcc, s23, v4
	v_cmp_ne_u32_e64 s[0:1], 0, v10
	v_cndmask_b32_e64 v8, 0, -1, vcc
	v_cmp_le_u32_e32 vcc, s22, v3
	v_cndmask_b32_e64 v5, v9, v5, s[0:1]
	v_cndmask_b32_e64 v9, 0, -1, vcc
	v_cmp_eq_u32_e32 vcc, s23, v4
	v_cndmask_b32_e32 v8, v8, v9, vcc
	v_cmp_ne_u32_e32 vcc, 0, v8
	v_cndmask_b32_e32 v4, v4, v5, vcc
	v_cndmask_b32_e64 v5, v7, v6, s[0:1]
	v_cndmask_b32_e32 v3, v3, v5, vcc
	v_subrev_co_u32_e32 v7, vcc, 0, v3
	v_subbrev_co_u32_e32 v8, vcc, 0, v4, vcc
.LBB65_8:
	s_andn2_saveexec_b64 s[0:1], s[20:21]
	s_cbranch_execz .LBB65_10
; %bb.9:
	v_cvt_f32_u32_e32 v3, s14
	s_sub_i32 s2, 0, s14
	v_mov_b32_e32 v8, 0
	v_rcp_iflag_f32_e32 v3, v3
	v_mul_f32_e32 v3, 0x4f7ffffe, v3
	v_cvt_u32_f32_e32 v3, v3
	v_mul_lo_u32 v4, s2, v3
	v_mul_hi_u32 v4, v3, v4
	v_add_u32_e32 v3, v3, v4
	v_mul_hi_u32 v3, v1, v3
	v_mul_lo_u32 v3, v3, s14
	v_sub_u32_e32 v3, v1, v3
	v_subrev_u32_e32 v4, s14, v3
	v_cmp_le_u32_e32 vcc, s14, v3
	v_cndmask_b32_e32 v3, v3, v4, vcc
	v_subrev_u32_e32 v4, s14, v3
	v_cmp_le_u32_e32 vcc, s14, v3
	v_cndmask_b32_e32 v7, v3, v4, vcc
.LBB65_10:
	s_or_b64 exec, exec, s[0:1]
	v_lshlrev_b64 v[3:4], 3, v[1:2]
	v_mov_b32_e32 v5, s7
	v_add_co_u32_e32 v3, vcc, s6, v3
	v_addc_co_u32_e32 v4, vcc, v5, v4, vcc
	global_load_dwordx2 v[3:4], v[3:4], off
	s_mov_b64 s[22:23], -1
	s_waitcnt vmcnt(0)
	v_subrev_co_u32_e32 v5, vcc, s18, v3
	v_subbrev_co_u32_e32 v6, vcc, 0, v4, vcc
	v_cmp_lt_i64_e32 vcc, -1, v[5:6]
	s_and_b64 exec, exec, vcc
	s_cbranch_execz .LBB65_37
; %bb.11:
	s_load_dwordx4 s[0:3], s[4:5], 0x0
	s_load_dwordx2 s[6:7], s[4:5], 0x40
                                        ; implicit-def: $vgpr3_vgpr4
	s_waitcnt lgkmcnt(0)
	s_cmp_eq_u32 s2, 1
	s_cselect_b64 s[14:15], -1, 0
	s_cmpk_eq_i32 s0, 0x6f
	s_cselect_b64 s[18:19], -1, 0
	s_cmpk_lg_i32 s0, 0x6f
	s_cselect_b64 s[20:21], -1, 0
	s_cmp_lg_u32 s2, 1
	s_cbranch_scc0 .LBB65_15
; %bb.12:
	v_mov_b32_e32 v3, v7
	s_andn2_b64 vcc, exec, s[18:19]
	v_mov_b32_e32 v4, v8
	s_cbranch_vccnz .LBB65_14
; %bb.13:
	v_mul_lo_u32 v9, v8, s6
	v_mul_lo_u32 v10, v7, s7
	v_mad_u64_u32 v[3:4], s[22:23], v7, s6, 0
	v_add3_u32 v4, v4, v10, v9
.LBB65_14:
	s_mov_b64 s[22:23], 0
.LBB65_15:
	s_andn2_b64 vcc, exec, s[22:23]
	s_cbranch_vccnz .LBB65_19
; %bb.16:
	s_andn2_b64 vcc, exec, s[20:21]
	s_cbranch_vccnz .LBB65_18
; %bb.17:
	v_mul_lo_u32 v3, v8, s6
	v_mul_lo_u32 v4, v7, s7
	v_mad_u64_u32 v[7:8], s[20:21], v7, s6, 0
	v_add3_u32 v8, v8, v4, v3
.LBB65_18:
	v_mov_b32_e32 v3, v7
	v_mov_b32_e32 v4, v8
.LBB65_19:
	s_cmp_eq_u32 s3, 1
	s_cselect_b64 s[22:23], -1, 0
	s_cmpk_eq_i32 s1, 0x6f
	s_cselect_b64 s[24:25], -1, 0
	s_cmpk_lg_i32 s1, 0x6f
	s_cselect_b64 s[0:1], -1, 0
	s_cmp_lg_u32 s3, 1
	s_cbranch_scc0 .LBB65_23
; %bb.20:
	v_mov_b32_e32 v8, v6
	s_andn2_b64 vcc, exec, s[0:1]
	v_mov_b32_e32 v7, v5
	s_cbranch_vccnz .LBB65_22
; %bb.21:
	v_mul_lo_u32 v9, v6, s8
	v_mul_lo_u32 v10, v5, s9
	v_mad_u64_u32 v[7:8], s[0:1], v5, s8, 0
	v_add3_u32 v8, v8, v10, v9
.LBB65_22:
	s_cbranch_execz .LBB65_24
	s_branch .LBB65_27
.LBB65_23:
                                        ; implicit-def: $vgpr7_vgpr8
.LBB65_24:
	s_andn2_b64 vcc, exec, s[24:25]
	s_cbranch_vccnz .LBB65_26
; %bb.25:
	v_mul_lo_u32 v7, v6, s8
	v_mul_lo_u32 v8, v5, s9
	v_mad_u64_u32 v[5:6], s[0:1], v5, s8, 0
	v_add3_u32 v6, v6, v8, v7
.LBB65_26:
	v_mov_b32_e32 v8, v6
	v_mov_b32_e32 v7, v5
.LBB65_27:
	s_load_dwordx2 s[2:3], s[4:5], 0x60
	v_and_b32_e32 v5, 3, v0
	v_mov_b32_e32 v6, 0
	v_cmp_gt_i64_e32 vcc, s[12:13], v[5:6]
	s_and_saveexec_b64 s[20:21], vcc
	s_cbranch_execz .LBB65_31
; %bb.28:
	s_xor_b64 s[0:1], s[18:19], s[14:15]
	s_and_b64 s[0:1], s[0:1], exec
	s_cselect_b32 s1, 0, s7
	s_cselect_b32 s0, 1, s6
	s_xor_b64 s[6:7], s[24:25], s[22:23]
	s_and_b64 s[6:7], s[6:7], exec
	s_cselect_b32 s6, s8, 1
	v_mad_u64_u32 v[9:10], s[14:15], s6, v5, 0
	s_cselect_b32 s7, s9, 0
	v_lshlrev_b64 v[7:8], 1, v[7:8]
	v_mov_b32_e32 v0, v10
	v_mad_u64_u32 v[12:13], s[8:9], s7, v5, v[0:1]
	s_load_dwordx2 s[8:9], s[4:5], 0x38
	s_load_dwordx2 s[14:15], s[4:5], 0x48
	v_lshlrev_b64 v[3:4], 1, v[3:4]
	v_mov_b32_e32 v10, v12
	v_mad_u64_u32 v[12:13], s[4:5], s0, v5, 0
	v_lshlrev_b64 v[9:10], 1, v[9:10]
	s_waitcnt lgkmcnt(0)
	v_mov_b32_e32 v14, s15
	v_add_co_u32_e32 v7, vcc, v9, v7
	v_mov_b32_e32 v0, v13
	v_addc_co_u32_e32 v8, vcc, v10, v8, vcc
	v_mad_u64_u32 v[9:10], s[4:5], s1, v5, v[0:1]
	v_add_co_u32_e32 v7, vcc, s14, v7
	v_mov_b32_e32 v13, v9
	v_lshlrev_b64 v[9:10], 1, v[12:13]
	v_addc_co_u32_e32 v8, vcc, v14, v8, vcc
	v_add_co_u32_e32 v0, vcc, v9, v3
	v_addc_co_u32_e32 v4, vcc, v10, v4, vcc
	v_mov_b32_e32 v9, s9
	v_add_co_u32_e32 v3, vcc, s8, v0
	v_addc_co_u32_e32 v4, vcc, v9, v4, vcc
	v_mov_b32_e32 v0, 0
	v_mov_b32_e32 v10, v6
	s_lshl_b64 s[4:5], s[6:7], 3
	s_lshl_b64 s[6:7], s[0:1], 3
	s_mov_b64 s[8:9], 0
	v_mov_b32_e32 v9, v5
	v_mov_b32_e32 v6, v0
.LBB65_29:                              ; =>This Inner Loop Header: Depth=1
	global_load_ushort v0, v[3:4], off
	global_load_ushort v12, v[7:8], off
	v_add_co_u32_e32 v9, vcc, 4, v9
	v_mov_b32_e32 v13, s5
	v_add_co_u32_e64 v7, s[0:1], s4, v7
	v_addc_co_u32_e32 v10, vcc, 0, v10, vcc
	v_addc_co_u32_e64 v8, s[0:1], v8, v13, s[0:1]
	v_cmp_le_i64_e64 s[0:1], s[12:13], v[9:10]
	v_mov_b32_e32 v14, s7
	v_add_co_u32_e32 v3, vcc, s6, v3
	v_addc_co_u32_e32 v4, vcc, v4, v14, vcc
	s_or_b64 s[8:9], s[0:1], s[8:9]
	s_waitcnt vmcnt(0)
	v_mul_f16_e32 v0, v0, v12
	v_cvt_f32_f16_e32 v0, v0
	v_add_f32_e32 v6, v6, v0
	s_andn2_b64 exec, exec, s[8:9]
	s_cbranch_execnz .LBB65_29
; %bb.30:
	s_or_b64 exec, exec, s[8:9]
.LBB65_31:
	s_or_b64 exec, exec, s[20:21]
	v_lshlrev_b32_e32 v0, 4, v11
	v_lshl_or_b32 v3, v5, 2, v0
	v_cmp_gt_u32_e32 vcc, 2, v5
	ds_write_b32 v3, v6
	s_waitcnt lgkmcnt(0)
	s_barrier
	s_and_saveexec_b64 s[0:1], vcc
	s_cbranch_execz .LBB65_33
; %bb.32:
	ds_read2_b32 v[6:7], v3 offset1:2
	s_waitcnt lgkmcnt(0)
	v_add_f32_e32 v4, v7, v6
	ds_write_b32 v3, v4
.LBB65_33:
	s_or_b64 exec, exec, s[0:1]
	v_cmp_eq_u32_e32 vcc, 0, v5
	s_waitcnt lgkmcnt(0)
	s_barrier
	s_and_saveexec_b64 s[0:1], vcc
	s_cbranch_execz .LBB65_35
; %bb.34:
	ds_read2_b32 v[4:5], v3 offset1:1
	s_waitcnt lgkmcnt(0)
	v_add_f32_e32 v4, v5, v4
	ds_write_b32 v3, v4
.LBB65_35:
	s_or_b64 exec, exec, s[0:1]
	s_waitcnt lgkmcnt(0)
	s_barrier
	s_and_b64 exec, exec, vcc
	s_cbranch_execz .LBB65_37
; %bb.36:
	v_lshlrev_b64 v[1:2], 2, v[1:2]
	v_mov_b32_e32 v3, s3
	v_add_co_u32_e32 v1, vcc, s2, v1
	v_addc_co_u32_e32 v2, vcc, v3, v2, vcc
	global_load_dword v3, v[1:2], off
	ds_read_b32 v0, v0
	s_waitcnt lgkmcnt(0)
	v_mul_f32_e32 v0, s16, v0
	s_waitcnt vmcnt(0)
	v_fmac_f32_e32 v0, s10, v3
	global_store_dword v[1:2], v0, off
.LBB65_37:
	s_endpgm
	.section	.rodata,"a",@progbits
	.p2align	6, 0x0
	.amdhsa_kernel _ZN9rocsparseL16sddmm_ell_kernelILi512ELi4EfllDF16_DF16_fEEv20rocsparse_operation_S1_16rocsparse_order_S2_T3_S3_S3_T2_NS_24const_host_device_scalarIT1_EEPKT4_lPKT5_lS7_PT6_PKS3_21rocsparse_index_base_b
		.amdhsa_group_segment_fixed_size 2048
		.amdhsa_private_segment_fixed_size 0
		.amdhsa_kernarg_size 120
		.amdhsa_user_sgpr_count 6
		.amdhsa_user_sgpr_private_segment_buffer 1
		.amdhsa_user_sgpr_dispatch_ptr 0
		.amdhsa_user_sgpr_queue_ptr 0
		.amdhsa_user_sgpr_kernarg_segment_ptr 1
		.amdhsa_user_sgpr_dispatch_id 0
		.amdhsa_user_sgpr_flat_scratch_init 0
		.amdhsa_user_sgpr_private_segment_size 0
		.amdhsa_uses_dynamic_stack 0
		.amdhsa_system_sgpr_private_segment_wavefront_offset 0
		.amdhsa_system_sgpr_workgroup_id_x 1
		.amdhsa_system_sgpr_workgroup_id_y 0
		.amdhsa_system_sgpr_workgroup_id_z 0
		.amdhsa_system_sgpr_workgroup_info 0
		.amdhsa_system_vgpr_workitem_id 0
		.amdhsa_next_free_vgpr 15
		.amdhsa_next_free_sgpr 26
		.amdhsa_reserve_vcc 1
		.amdhsa_reserve_flat_scratch 0
		.amdhsa_float_round_mode_32 0
		.amdhsa_float_round_mode_16_64 0
		.amdhsa_float_denorm_mode_32 3
		.amdhsa_float_denorm_mode_16_64 3
		.amdhsa_dx10_clamp 1
		.amdhsa_ieee_mode 1
		.amdhsa_fp16_overflow 0
		.amdhsa_exception_fp_ieee_invalid_op 0
		.amdhsa_exception_fp_denorm_src 0
		.amdhsa_exception_fp_ieee_div_zero 0
		.amdhsa_exception_fp_ieee_overflow 0
		.amdhsa_exception_fp_ieee_underflow 0
		.amdhsa_exception_fp_ieee_inexact 0
		.amdhsa_exception_int_div_zero 0
	.end_amdhsa_kernel
	.section	.text._ZN9rocsparseL16sddmm_ell_kernelILi512ELi4EfllDF16_DF16_fEEv20rocsparse_operation_S1_16rocsparse_order_S2_T3_S3_S3_T2_NS_24const_host_device_scalarIT1_EEPKT4_lPKT5_lS7_PT6_PKS3_21rocsparse_index_base_b,"axG",@progbits,_ZN9rocsparseL16sddmm_ell_kernelILi512ELi4EfllDF16_DF16_fEEv20rocsparse_operation_S1_16rocsparse_order_S2_T3_S3_S3_T2_NS_24const_host_device_scalarIT1_EEPKT4_lPKT5_lS7_PT6_PKS3_21rocsparse_index_base_b,comdat
.Lfunc_end65:
	.size	_ZN9rocsparseL16sddmm_ell_kernelILi512ELi4EfllDF16_DF16_fEEv20rocsparse_operation_S1_16rocsparse_order_S2_T3_S3_S3_T2_NS_24const_host_device_scalarIT1_EEPKT4_lPKT5_lS7_PT6_PKS3_21rocsparse_index_base_b, .Lfunc_end65-_ZN9rocsparseL16sddmm_ell_kernelILi512ELi4EfllDF16_DF16_fEEv20rocsparse_operation_S1_16rocsparse_order_S2_T3_S3_S3_T2_NS_24const_host_device_scalarIT1_EEPKT4_lPKT5_lS7_PT6_PKS3_21rocsparse_index_base_b
                                        ; -- End function
	.set _ZN9rocsparseL16sddmm_ell_kernelILi512ELi4EfllDF16_DF16_fEEv20rocsparse_operation_S1_16rocsparse_order_S2_T3_S3_S3_T2_NS_24const_host_device_scalarIT1_EEPKT4_lPKT5_lS7_PT6_PKS3_21rocsparse_index_base_b.num_vgpr, 15
	.set _ZN9rocsparseL16sddmm_ell_kernelILi512ELi4EfllDF16_DF16_fEEv20rocsparse_operation_S1_16rocsparse_order_S2_T3_S3_S3_T2_NS_24const_host_device_scalarIT1_EEPKT4_lPKT5_lS7_PT6_PKS3_21rocsparse_index_base_b.num_agpr, 0
	.set _ZN9rocsparseL16sddmm_ell_kernelILi512ELi4EfllDF16_DF16_fEEv20rocsparse_operation_S1_16rocsparse_order_S2_T3_S3_S3_T2_NS_24const_host_device_scalarIT1_EEPKT4_lPKT5_lS7_PT6_PKS3_21rocsparse_index_base_b.numbered_sgpr, 26
	.set _ZN9rocsparseL16sddmm_ell_kernelILi512ELi4EfllDF16_DF16_fEEv20rocsparse_operation_S1_16rocsparse_order_S2_T3_S3_S3_T2_NS_24const_host_device_scalarIT1_EEPKT4_lPKT5_lS7_PT6_PKS3_21rocsparse_index_base_b.num_named_barrier, 0
	.set _ZN9rocsparseL16sddmm_ell_kernelILi512ELi4EfllDF16_DF16_fEEv20rocsparse_operation_S1_16rocsparse_order_S2_T3_S3_S3_T2_NS_24const_host_device_scalarIT1_EEPKT4_lPKT5_lS7_PT6_PKS3_21rocsparse_index_base_b.private_seg_size, 0
	.set _ZN9rocsparseL16sddmm_ell_kernelILi512ELi4EfllDF16_DF16_fEEv20rocsparse_operation_S1_16rocsparse_order_S2_T3_S3_S3_T2_NS_24const_host_device_scalarIT1_EEPKT4_lPKT5_lS7_PT6_PKS3_21rocsparse_index_base_b.uses_vcc, 1
	.set _ZN9rocsparseL16sddmm_ell_kernelILi512ELi4EfllDF16_DF16_fEEv20rocsparse_operation_S1_16rocsparse_order_S2_T3_S3_S3_T2_NS_24const_host_device_scalarIT1_EEPKT4_lPKT5_lS7_PT6_PKS3_21rocsparse_index_base_b.uses_flat_scratch, 0
	.set _ZN9rocsparseL16sddmm_ell_kernelILi512ELi4EfllDF16_DF16_fEEv20rocsparse_operation_S1_16rocsparse_order_S2_T3_S3_S3_T2_NS_24const_host_device_scalarIT1_EEPKT4_lPKT5_lS7_PT6_PKS3_21rocsparse_index_base_b.has_dyn_sized_stack, 0
	.set _ZN9rocsparseL16sddmm_ell_kernelILi512ELi4EfllDF16_DF16_fEEv20rocsparse_operation_S1_16rocsparse_order_S2_T3_S3_S3_T2_NS_24const_host_device_scalarIT1_EEPKT4_lPKT5_lS7_PT6_PKS3_21rocsparse_index_base_b.has_recursion, 0
	.set _ZN9rocsparseL16sddmm_ell_kernelILi512ELi4EfllDF16_DF16_fEEv20rocsparse_operation_S1_16rocsparse_order_S2_T3_S3_S3_T2_NS_24const_host_device_scalarIT1_EEPKT4_lPKT5_lS7_PT6_PKS3_21rocsparse_index_base_b.has_indirect_call, 0
	.section	.AMDGPU.csdata,"",@progbits
; Kernel info:
; codeLenInByte = 1756
; TotalNumSgprs: 30
; NumVgprs: 15
; ScratchSize: 0
; MemoryBound: 0
; FloatMode: 240
; IeeeMode: 1
; LDSByteSize: 2048 bytes/workgroup (compile time only)
; SGPRBlocks: 3
; VGPRBlocks: 3
; NumSGPRsForWavesPerEU: 30
; NumVGPRsForWavesPerEU: 15
; Occupancy: 10
; WaveLimiterHint : 0
; COMPUTE_PGM_RSRC2:SCRATCH_EN: 0
; COMPUTE_PGM_RSRC2:USER_SGPR: 6
; COMPUTE_PGM_RSRC2:TRAP_HANDLER: 0
; COMPUTE_PGM_RSRC2:TGID_X_EN: 1
; COMPUTE_PGM_RSRC2:TGID_Y_EN: 0
; COMPUTE_PGM_RSRC2:TGID_Z_EN: 0
; COMPUTE_PGM_RSRC2:TIDIG_COMP_CNT: 0
	.section	.text._ZN9rocsparseL16sddmm_ell_kernelILi512ELi2EfllDF16_DF16_fEEv20rocsparse_operation_S1_16rocsparse_order_S2_T3_S3_S3_T2_NS_24const_host_device_scalarIT1_EEPKT4_lPKT5_lS7_PT6_PKS3_21rocsparse_index_base_b,"axG",@progbits,_ZN9rocsparseL16sddmm_ell_kernelILi512ELi2EfllDF16_DF16_fEEv20rocsparse_operation_S1_16rocsparse_order_S2_T3_S3_S3_T2_NS_24const_host_device_scalarIT1_EEPKT4_lPKT5_lS7_PT6_PKS3_21rocsparse_index_base_b,comdat
	.globl	_ZN9rocsparseL16sddmm_ell_kernelILi512ELi2EfllDF16_DF16_fEEv20rocsparse_operation_S1_16rocsparse_order_S2_T3_S3_S3_T2_NS_24const_host_device_scalarIT1_EEPKT4_lPKT5_lS7_PT6_PKS3_21rocsparse_index_base_b ; -- Begin function _ZN9rocsparseL16sddmm_ell_kernelILi512ELi2EfllDF16_DF16_fEEv20rocsparse_operation_S1_16rocsparse_order_S2_T3_S3_S3_T2_NS_24const_host_device_scalarIT1_EEPKT4_lPKT5_lS7_PT6_PKS3_21rocsparse_index_base_b
	.p2align	8
	.type	_ZN9rocsparseL16sddmm_ell_kernelILi512ELi2EfllDF16_DF16_fEEv20rocsparse_operation_S1_16rocsparse_order_S2_T3_S3_S3_T2_NS_24const_host_device_scalarIT1_EEPKT4_lPKT5_lS7_PT6_PKS3_21rocsparse_index_base_b,@function
_ZN9rocsparseL16sddmm_ell_kernelILi512ELi2EfllDF16_DF16_fEEv20rocsparse_operation_S1_16rocsparse_order_S2_T3_S3_S3_T2_NS_24const_host_device_scalarIT1_EEPKT4_lPKT5_lS7_PT6_PKS3_21rocsparse_index_base_b: ; @_ZN9rocsparseL16sddmm_ell_kernelILi512ELi2EfllDF16_DF16_fEEv20rocsparse_operation_S1_16rocsparse_order_S2_T3_S3_S3_T2_NS_24const_host_device_scalarIT1_EEPKT4_lPKT5_lS7_PT6_PKS3_21rocsparse_index_base_b
; %bb.0:
	s_load_dwordx2 s[18:19], s[4:5], 0x70
	s_load_dwordx2 s[16:17], s[4:5], 0x30
	s_load_dwordx4 s[8:11], s[4:5], 0x50
	s_waitcnt lgkmcnt(0)
	s_bitcmp1_b32 s19, 0
	s_cselect_b64 s[2:3], -1, 0
	s_xor_b64 s[0:1], s[2:3], -1
	s_and_b64 vcc, exec, s[2:3]
	s_cbranch_vccnz .LBB66_2
; %bb.1:
	s_load_dword s16, s[16:17], 0x0
.LBB66_2:
	s_andn2_b64 vcc, exec, s[0:1]
	s_cbranch_vccnz .LBB66_4
; %bb.3:
	s_load_dword s10, s[10:11], 0x0
.LBB66_4:
	s_waitcnt lgkmcnt(0)
	v_cmp_eq_f32_e64 s[0:1], s16, 0
	v_cmp_eq_f32_e64 s[2:3], s10, 1.0
	s_and_b64 s[0:1], s[0:1], s[2:3]
	s_and_b64 vcc, exec, s[0:1]
	s_cbranch_vccnz .LBB66_35
; %bb.5:
	s_load_dwordx4 s[12:15], s[4:5], 0x20
	v_lshrrev_b32_e32 v11, 1, v0
	v_lshl_or_b32 v1, s6, 8, v11
	v_mov_b32_e32 v2, 0
	s_waitcnt lgkmcnt(0)
	v_cmp_gt_i64_e32 vcc, s[14:15], v[1:2]
	s_and_saveexec_b64 s[0:1], vcc
	s_cbranch_execz .LBB66_35
; %bb.6:
	s_load_dwordx2 s[14:15], s[4:5], 0x10
	s_load_dwordx2 s[6:7], s[4:5], 0x68
	s_mov_b32 s0, 0
                                        ; implicit-def: $vgpr7_vgpr8
	s_waitcnt lgkmcnt(0)
	s_mov_b32 s1, s15
	s_cmp_lg_u64 s[0:1], 0
	s_cselect_b64 s[0:1], -1, 0
	s_and_saveexec_b64 s[2:3], s[0:1]
	s_xor_b64 s[20:21], exec, s[2:3]
	s_cbranch_execz .LBB66_8
; %bb.7:
	s_ashr_i32 s0, s15, 31
	s_add_u32 s2, s14, s0
	s_mov_b32 s1, s0
	s_addc_u32 s3, s15, s0
	s_xor_b64 s[22:23], s[2:3], s[0:1]
	v_cvt_f32_u32_e32 v3, s22
	v_cvt_f32_u32_e32 v4, s23
	s_sub_u32 s2, 0, s22
	s_subb_u32 s3, 0, s23
	v_add_co_u32_e32 v7, vcc, 0, v1
	v_madmk_f32 v3, v4, 0x4f800000, v3
	v_rcp_f32_e32 v3, v3
	v_mul_f32_e32 v3, 0x5f7ffffc, v3
	v_mul_f32_e32 v4, 0x2f800000, v3
	v_trunc_f32_e32 v4, v4
	v_madmk_f32 v3, v4, 0xcf800000, v3
	v_cvt_u32_f32_e32 v4, v4
	v_cvt_u32_f32_e32 v3, v3
	v_readfirstlane_b32 s11, v4
	v_readfirstlane_b32 s0, v3
	s_mul_i32 s1, s2, s11
	s_mul_hi_u32 s17, s2, s0
	s_mul_i32 s15, s3, s0
	s_add_i32 s1, s17, s1
	s_add_i32 s1, s1, s15
	s_mul_i32 s19, s2, s0
	s_mul_i32 s17, s0, s1
	s_mul_hi_u32 s24, s0, s19
	s_mul_hi_u32 s15, s0, s1
	s_add_u32 s17, s24, s17
	s_addc_u32 s15, 0, s15
	s_mul_hi_u32 s25, s11, s19
	s_mul_i32 s19, s11, s19
	s_add_u32 s17, s17, s19
	s_mul_hi_u32 s24, s11, s1
	s_addc_u32 s15, s15, s25
	s_addc_u32 s17, s24, 0
	s_mul_i32 s1, s11, s1
	s_add_u32 s1, s15, s1
	s_addc_u32 s15, 0, s17
	s_add_u32 s17, s0, s1
	s_cselect_b64 s[0:1], -1, 0
	s_cmp_lg_u64 s[0:1], 0
	s_addc_u32 s11, s11, s15
	s_mul_i32 s0, s2, s11
	s_mul_hi_u32 s1, s2, s17
	s_add_i32 s0, s1, s0
	s_mul_i32 s3, s3, s17
	s_add_i32 s0, s0, s3
	s_mul_i32 s2, s2, s17
	s_mul_hi_u32 s3, s11, s2
	s_mul_i32 s15, s11, s2
	s_mul_i32 s24, s17, s0
	s_mul_hi_u32 s2, s17, s2
	s_mul_hi_u32 s19, s17, s0
	s_add_u32 s2, s2, s24
	s_addc_u32 s19, 0, s19
	s_add_u32 s2, s2, s15
	s_mul_hi_u32 s1, s11, s0
	s_addc_u32 s2, s19, s3
	s_addc_u32 s1, s1, 0
	s_mul_i32 s0, s11, s0
	s_add_u32 s0, s2, s0
	s_addc_u32 s2, 0, s1
	s_add_u32 s3, s17, s0
	s_cselect_b64 s[0:1], -1, 0
	s_cmp_lg_u64 s[0:1], 0
	s_addc_u32 s2, s11, s2
	v_mad_u64_u32 v[3:4], s[0:1], v7, s2, 0
	v_mul_hi_u32 v5, v7, s3
	v_addc_co_u32_e64 v8, s[0:1], 0, 0, vcc
	v_add_co_u32_e32 v9, vcc, v5, v3
	v_addc_co_u32_e32 v10, vcc, 0, v4, vcc
	v_mad_u64_u32 v[3:4], s[0:1], v8, s3, 0
	v_mad_u64_u32 v[5:6], s[0:1], v8, s2, 0
	v_add_co_u32_e32 v3, vcc, v9, v3
	v_addc_co_u32_e32 v3, vcc, v10, v4, vcc
	v_addc_co_u32_e32 v4, vcc, 0, v6, vcc
	v_add_co_u32_e32 v3, vcc, v3, v5
	v_addc_co_u32_e32 v4, vcc, 0, v4, vcc
	v_mul_lo_u32 v5, s23, v3
	v_mul_lo_u32 v6, s22, v4
	v_mad_u64_u32 v[3:4], s[0:1], s22, v3, 0
	v_add3_u32 v4, v4, v6, v5
	v_sub_u32_e32 v5, v8, v4
	v_mov_b32_e32 v6, s23
	v_sub_co_u32_e32 v3, vcc, v7, v3
	v_subb_co_u32_e64 v5, s[0:1], v5, v6, vcc
	v_subrev_co_u32_e64 v7, s[0:1], s22, v3
	v_subbrev_co_u32_e64 v9, s[2:3], 0, v5, s[0:1]
	v_cmp_le_u32_e64 s[2:3], s23, v9
	v_cndmask_b32_e64 v10, 0, -1, s[2:3]
	v_cmp_le_u32_e64 s[2:3], s22, v7
	v_subb_co_u32_e64 v5, s[0:1], v5, v6, s[0:1]
	v_cndmask_b32_e64 v12, 0, -1, s[2:3]
	v_cmp_eq_u32_e64 s[2:3], s23, v9
	v_subrev_co_u32_e64 v6, s[0:1], s22, v7
	v_subb_co_u32_e32 v4, vcc, v8, v4, vcc
	v_cndmask_b32_e64 v10, v10, v12, s[2:3]
	v_subbrev_co_u32_e64 v5, s[0:1], 0, v5, s[0:1]
	v_cmp_le_u32_e32 vcc, s23, v4
	v_cmp_ne_u32_e64 s[0:1], 0, v10
	v_cndmask_b32_e64 v8, 0, -1, vcc
	v_cmp_le_u32_e32 vcc, s22, v3
	v_cndmask_b32_e64 v5, v9, v5, s[0:1]
	v_cndmask_b32_e64 v9, 0, -1, vcc
	v_cmp_eq_u32_e32 vcc, s23, v4
	v_cndmask_b32_e32 v8, v8, v9, vcc
	v_cmp_ne_u32_e32 vcc, 0, v8
	v_cndmask_b32_e32 v4, v4, v5, vcc
	v_cndmask_b32_e64 v5, v7, v6, s[0:1]
	v_cndmask_b32_e32 v3, v3, v5, vcc
	v_subrev_co_u32_e32 v7, vcc, 0, v3
	v_subbrev_co_u32_e32 v8, vcc, 0, v4, vcc
.LBB66_8:
	s_andn2_saveexec_b64 s[0:1], s[20:21]
	s_cbranch_execz .LBB66_10
; %bb.9:
	v_cvt_f32_u32_e32 v3, s14
	s_sub_i32 s2, 0, s14
	v_mov_b32_e32 v8, 0
	v_rcp_iflag_f32_e32 v3, v3
	v_mul_f32_e32 v3, 0x4f7ffffe, v3
	v_cvt_u32_f32_e32 v3, v3
	v_mul_lo_u32 v4, s2, v3
	v_mul_hi_u32 v4, v3, v4
	v_add_u32_e32 v3, v3, v4
	v_mul_hi_u32 v3, v1, v3
	v_mul_lo_u32 v3, v3, s14
	v_sub_u32_e32 v3, v1, v3
	v_subrev_u32_e32 v4, s14, v3
	v_cmp_le_u32_e32 vcc, s14, v3
	v_cndmask_b32_e32 v3, v3, v4, vcc
	v_subrev_u32_e32 v4, s14, v3
	v_cmp_le_u32_e32 vcc, s14, v3
	v_cndmask_b32_e32 v7, v3, v4, vcc
.LBB66_10:
	s_or_b64 exec, exec, s[0:1]
	v_lshlrev_b64 v[3:4], 3, v[1:2]
	v_mov_b32_e32 v5, s7
	v_add_co_u32_e32 v3, vcc, s6, v3
	v_addc_co_u32_e32 v4, vcc, v5, v4, vcc
	global_load_dwordx2 v[3:4], v[3:4], off
	s_mov_b64 s[22:23], -1
	s_waitcnt vmcnt(0)
	v_subrev_co_u32_e32 v5, vcc, s18, v3
	v_subbrev_co_u32_e32 v6, vcc, 0, v4, vcc
	v_cmp_lt_i64_e32 vcc, -1, v[5:6]
	s_and_b64 exec, exec, vcc
	s_cbranch_execz .LBB66_35
; %bb.11:
	s_load_dwordx4 s[0:3], s[4:5], 0x0
	s_load_dwordx2 s[6:7], s[4:5], 0x40
                                        ; implicit-def: $vgpr3_vgpr4
	s_waitcnt lgkmcnt(0)
	s_cmp_eq_u32 s2, 1
	s_cselect_b64 s[14:15], -1, 0
	s_cmpk_eq_i32 s0, 0x6f
	s_cselect_b64 s[18:19], -1, 0
	s_cmpk_lg_i32 s0, 0x6f
	s_cselect_b64 s[20:21], -1, 0
	s_cmp_lg_u32 s2, 1
	s_cbranch_scc0 .LBB66_15
; %bb.12:
	v_mov_b32_e32 v3, v7
	s_andn2_b64 vcc, exec, s[18:19]
	v_mov_b32_e32 v4, v8
	s_cbranch_vccnz .LBB66_14
; %bb.13:
	v_mul_lo_u32 v9, v8, s6
	v_mul_lo_u32 v10, v7, s7
	v_mad_u64_u32 v[3:4], s[22:23], v7, s6, 0
	v_add3_u32 v4, v4, v10, v9
.LBB66_14:
	s_mov_b64 s[22:23], 0
.LBB66_15:
	s_andn2_b64 vcc, exec, s[22:23]
	s_cbranch_vccnz .LBB66_19
; %bb.16:
	s_andn2_b64 vcc, exec, s[20:21]
	s_cbranch_vccnz .LBB66_18
; %bb.17:
	v_mul_lo_u32 v3, v8, s6
	v_mul_lo_u32 v4, v7, s7
	v_mad_u64_u32 v[7:8], s[20:21], v7, s6, 0
	v_add3_u32 v8, v8, v4, v3
.LBB66_18:
	v_mov_b32_e32 v3, v7
	v_mov_b32_e32 v4, v8
.LBB66_19:
	s_cmp_eq_u32 s3, 1
	s_cselect_b64 s[22:23], -1, 0
	s_cmpk_eq_i32 s1, 0x6f
	s_cselect_b64 s[24:25], -1, 0
	s_cmpk_lg_i32 s1, 0x6f
	s_cselect_b64 s[0:1], -1, 0
	s_cmp_lg_u32 s3, 1
	s_cbranch_scc0 .LBB66_23
; %bb.20:
	v_mov_b32_e32 v8, v6
	s_andn2_b64 vcc, exec, s[0:1]
	v_mov_b32_e32 v7, v5
	s_cbranch_vccnz .LBB66_22
; %bb.21:
	v_mul_lo_u32 v9, v6, s8
	v_mul_lo_u32 v10, v5, s9
	v_mad_u64_u32 v[7:8], s[0:1], v5, s8, 0
	v_add3_u32 v8, v8, v10, v9
.LBB66_22:
	s_cbranch_execz .LBB66_24
	s_branch .LBB66_27
.LBB66_23:
                                        ; implicit-def: $vgpr7_vgpr8
.LBB66_24:
	s_andn2_b64 vcc, exec, s[24:25]
	s_cbranch_vccnz .LBB66_26
; %bb.25:
	v_mul_lo_u32 v7, v6, s8
	v_mul_lo_u32 v8, v5, s9
	v_mad_u64_u32 v[5:6], s[0:1], v5, s8, 0
	v_add3_u32 v6, v6, v8, v7
.LBB66_26:
	v_mov_b32_e32 v8, v6
	v_mov_b32_e32 v7, v5
.LBB66_27:
	s_load_dwordx2 s[2:3], s[4:5], 0x60
	v_and_b32_e32 v5, 1, v0
	v_mov_b32_e32 v6, 0
	v_cmp_gt_i64_e32 vcc, s[12:13], v[5:6]
	s_and_saveexec_b64 s[20:21], vcc
	s_cbranch_execz .LBB66_31
; %bb.28:
	s_xor_b64 s[0:1], s[18:19], s[14:15]
	s_and_b64 s[0:1], s[0:1], exec
	s_cselect_b32 s1, 0, s7
	s_cselect_b32 s0, 1, s6
	s_xor_b64 s[6:7], s[24:25], s[22:23]
	s_and_b64 s[6:7], s[6:7], exec
	s_cselect_b32 s7, s9, 0
	s_cselect_b32 s6, s8, 1
	v_mul_lo_u32 v10, s7, v5
	v_mul_lo_u32 v9, s6, v5
	v_lshlrev_b64 v[7:8], 1, v[7:8]
	s_load_dwordx2 s[8:9], s[4:5], 0x38
	s_load_dwordx2 s[14:15], s[4:5], 0x48
	v_lshlrev_b64 v[3:4], 1, v[3:4]
	v_lshlrev_b64 v[9:10], 1, v[9:10]
	s_lshl_b64 s[4:5], s[6:7], 2
	v_add_co_u32_e32 v0, vcc, v9, v7
	v_addc_co_u32_e32 v8, vcc, v10, v8, vcc
	v_mul_lo_u32 v10, s1, v5
	v_mul_lo_u32 v9, s0, v5
	s_waitcnt lgkmcnt(0)
	v_mov_b32_e32 v12, s15
	v_add_co_u32_e32 v7, vcc, s14, v0
	v_lshlrev_b64 v[9:10], 1, v[9:10]
	v_addc_co_u32_e32 v8, vcc, v12, v8, vcc
	v_add_co_u32_e32 v0, vcc, v9, v3
	v_addc_co_u32_e32 v4, vcc, v10, v4, vcc
	v_mov_b32_e32 v9, s9
	v_add_co_u32_e32 v3, vcc, s8, v0
	v_addc_co_u32_e32 v4, vcc, v9, v4, vcc
	s_lshl_b64 s[6:7], s[0:1], 2
	v_mov_b32_e32 v13, 0
	v_mov_b32_e32 v10, v6
	s_mov_b64 s[8:9], 0
	v_mov_b32_e32 v0, s5
	v_mov_b32_e32 v12, s7
	;; [unrolled: 1-line block ×4, first 2 shown]
.LBB66_29:                              ; =>This Inner Loop Header: Depth=1
	global_load_ushort v13, v[3:4], off
	global_load_ushort v14, v[7:8], off
	v_add_co_u32_e32 v9, vcc, 2, v9
	v_addc_co_u32_e32 v10, vcc, 0, v10, vcc
	v_add_co_u32_e32 v7, vcc, s4, v7
	v_addc_co_u32_e32 v8, vcc, v8, v0, vcc
	v_cmp_le_i64_e64 s[0:1], s[12:13], v[9:10]
	v_add_co_u32_e32 v3, vcc, s6, v3
	v_addc_co_u32_e32 v4, vcc, v4, v12, vcc
	s_or_b64 s[8:9], s[0:1], s[8:9]
	s_waitcnt vmcnt(0)
	v_mul_f16_e32 v13, v13, v14
	v_cvt_f32_f16_e32 v13, v13
	v_add_f32_e32 v6, v6, v13
	s_andn2_b64 exec, exec, s[8:9]
	s_cbranch_execnz .LBB66_29
; %bb.30:
	s_or_b64 exec, exec, s[8:9]
.LBB66_31:
	s_or_b64 exec, exec, s[20:21]
	v_lshlrev_b32_e32 v0, 3, v11
	v_lshl_or_b32 v3, v5, 2, v0
	v_cmp_eq_u32_e32 vcc, 0, v5
	ds_write_b32 v3, v6
	s_waitcnt lgkmcnt(0)
	s_barrier
	s_and_saveexec_b64 s[0:1], vcc
	s_cbranch_execz .LBB66_33
; %bb.32:
	ds_read_b32 v4, v0 offset:4
	ds_read_b32 v5, v3
	s_waitcnt lgkmcnt(0)
	v_add_f32_e32 v4, v4, v5
	ds_write_b32 v3, v4
.LBB66_33:
	s_or_b64 exec, exec, s[0:1]
	s_waitcnt lgkmcnt(0)
	s_barrier
	s_and_b64 exec, exec, vcc
	s_cbranch_execz .LBB66_35
; %bb.34:
	v_lshlrev_b64 v[1:2], 2, v[1:2]
	v_mov_b32_e32 v3, s3
	v_add_co_u32_e32 v1, vcc, s2, v1
	v_addc_co_u32_e32 v2, vcc, v3, v2, vcc
	global_load_dword v3, v[1:2], off
	ds_read_b32 v0, v0
	s_waitcnt lgkmcnt(0)
	v_mul_f32_e32 v0, s16, v0
	s_waitcnt vmcnt(0)
	v_fmac_f32_e32 v0, s10, v3
	global_store_dword v[1:2], v0, off
.LBB66_35:
	s_endpgm
	.section	.rodata,"a",@progbits
	.p2align	6, 0x0
	.amdhsa_kernel _ZN9rocsparseL16sddmm_ell_kernelILi512ELi2EfllDF16_DF16_fEEv20rocsparse_operation_S1_16rocsparse_order_S2_T3_S3_S3_T2_NS_24const_host_device_scalarIT1_EEPKT4_lPKT5_lS7_PT6_PKS3_21rocsparse_index_base_b
		.amdhsa_group_segment_fixed_size 2048
		.amdhsa_private_segment_fixed_size 0
		.amdhsa_kernarg_size 120
		.amdhsa_user_sgpr_count 6
		.amdhsa_user_sgpr_private_segment_buffer 1
		.amdhsa_user_sgpr_dispatch_ptr 0
		.amdhsa_user_sgpr_queue_ptr 0
		.amdhsa_user_sgpr_kernarg_segment_ptr 1
		.amdhsa_user_sgpr_dispatch_id 0
		.amdhsa_user_sgpr_flat_scratch_init 0
		.amdhsa_user_sgpr_private_segment_size 0
		.amdhsa_uses_dynamic_stack 0
		.amdhsa_system_sgpr_private_segment_wavefront_offset 0
		.amdhsa_system_sgpr_workgroup_id_x 1
		.amdhsa_system_sgpr_workgroup_id_y 0
		.amdhsa_system_sgpr_workgroup_id_z 0
		.amdhsa_system_sgpr_workgroup_info 0
		.amdhsa_system_vgpr_workitem_id 0
		.amdhsa_next_free_vgpr 15
		.amdhsa_next_free_sgpr 26
		.amdhsa_reserve_vcc 1
		.amdhsa_reserve_flat_scratch 0
		.amdhsa_float_round_mode_32 0
		.amdhsa_float_round_mode_16_64 0
		.amdhsa_float_denorm_mode_32 3
		.amdhsa_float_denorm_mode_16_64 3
		.amdhsa_dx10_clamp 1
		.amdhsa_ieee_mode 1
		.amdhsa_fp16_overflow 0
		.amdhsa_exception_fp_ieee_invalid_op 0
		.amdhsa_exception_fp_denorm_src 0
		.amdhsa_exception_fp_ieee_div_zero 0
		.amdhsa_exception_fp_ieee_overflow 0
		.amdhsa_exception_fp_ieee_underflow 0
		.amdhsa_exception_fp_ieee_inexact 0
		.amdhsa_exception_int_div_zero 0
	.end_amdhsa_kernel
	.section	.text._ZN9rocsparseL16sddmm_ell_kernelILi512ELi2EfllDF16_DF16_fEEv20rocsparse_operation_S1_16rocsparse_order_S2_T3_S3_S3_T2_NS_24const_host_device_scalarIT1_EEPKT4_lPKT5_lS7_PT6_PKS3_21rocsparse_index_base_b,"axG",@progbits,_ZN9rocsparseL16sddmm_ell_kernelILi512ELi2EfllDF16_DF16_fEEv20rocsparse_operation_S1_16rocsparse_order_S2_T3_S3_S3_T2_NS_24const_host_device_scalarIT1_EEPKT4_lPKT5_lS7_PT6_PKS3_21rocsparse_index_base_b,comdat
.Lfunc_end66:
	.size	_ZN9rocsparseL16sddmm_ell_kernelILi512ELi2EfllDF16_DF16_fEEv20rocsparse_operation_S1_16rocsparse_order_S2_T3_S3_S3_T2_NS_24const_host_device_scalarIT1_EEPKT4_lPKT5_lS7_PT6_PKS3_21rocsparse_index_base_b, .Lfunc_end66-_ZN9rocsparseL16sddmm_ell_kernelILi512ELi2EfllDF16_DF16_fEEv20rocsparse_operation_S1_16rocsparse_order_S2_T3_S3_S3_T2_NS_24const_host_device_scalarIT1_EEPKT4_lPKT5_lS7_PT6_PKS3_21rocsparse_index_base_b
                                        ; -- End function
	.set _ZN9rocsparseL16sddmm_ell_kernelILi512ELi2EfllDF16_DF16_fEEv20rocsparse_operation_S1_16rocsparse_order_S2_T3_S3_S3_T2_NS_24const_host_device_scalarIT1_EEPKT4_lPKT5_lS7_PT6_PKS3_21rocsparse_index_base_b.num_vgpr, 15
	.set _ZN9rocsparseL16sddmm_ell_kernelILi512ELi2EfllDF16_DF16_fEEv20rocsparse_operation_S1_16rocsparse_order_S2_T3_S3_S3_T2_NS_24const_host_device_scalarIT1_EEPKT4_lPKT5_lS7_PT6_PKS3_21rocsparse_index_base_b.num_agpr, 0
	.set _ZN9rocsparseL16sddmm_ell_kernelILi512ELi2EfllDF16_DF16_fEEv20rocsparse_operation_S1_16rocsparse_order_S2_T3_S3_S3_T2_NS_24const_host_device_scalarIT1_EEPKT4_lPKT5_lS7_PT6_PKS3_21rocsparse_index_base_b.numbered_sgpr, 26
	.set _ZN9rocsparseL16sddmm_ell_kernelILi512ELi2EfllDF16_DF16_fEEv20rocsparse_operation_S1_16rocsparse_order_S2_T3_S3_S3_T2_NS_24const_host_device_scalarIT1_EEPKT4_lPKT5_lS7_PT6_PKS3_21rocsparse_index_base_b.num_named_barrier, 0
	.set _ZN9rocsparseL16sddmm_ell_kernelILi512ELi2EfllDF16_DF16_fEEv20rocsparse_operation_S1_16rocsparse_order_S2_T3_S3_S3_T2_NS_24const_host_device_scalarIT1_EEPKT4_lPKT5_lS7_PT6_PKS3_21rocsparse_index_base_b.private_seg_size, 0
	.set _ZN9rocsparseL16sddmm_ell_kernelILi512ELi2EfllDF16_DF16_fEEv20rocsparse_operation_S1_16rocsparse_order_S2_T3_S3_S3_T2_NS_24const_host_device_scalarIT1_EEPKT4_lPKT5_lS7_PT6_PKS3_21rocsparse_index_base_b.uses_vcc, 1
	.set _ZN9rocsparseL16sddmm_ell_kernelILi512ELi2EfllDF16_DF16_fEEv20rocsparse_operation_S1_16rocsparse_order_S2_T3_S3_S3_T2_NS_24const_host_device_scalarIT1_EEPKT4_lPKT5_lS7_PT6_PKS3_21rocsparse_index_base_b.uses_flat_scratch, 0
	.set _ZN9rocsparseL16sddmm_ell_kernelILi512ELi2EfllDF16_DF16_fEEv20rocsparse_operation_S1_16rocsparse_order_S2_T3_S3_S3_T2_NS_24const_host_device_scalarIT1_EEPKT4_lPKT5_lS7_PT6_PKS3_21rocsparse_index_base_b.has_dyn_sized_stack, 0
	.set _ZN9rocsparseL16sddmm_ell_kernelILi512ELi2EfllDF16_DF16_fEEv20rocsparse_operation_S1_16rocsparse_order_S2_T3_S3_S3_T2_NS_24const_host_device_scalarIT1_EEPKT4_lPKT5_lS7_PT6_PKS3_21rocsparse_index_base_b.has_recursion, 0
	.set _ZN9rocsparseL16sddmm_ell_kernelILi512ELi2EfllDF16_DF16_fEEv20rocsparse_operation_S1_16rocsparse_order_S2_T3_S3_S3_T2_NS_24const_host_device_scalarIT1_EEPKT4_lPKT5_lS7_PT6_PKS3_21rocsparse_index_base_b.has_indirect_call, 0
	.section	.AMDGPU.csdata,"",@progbits
; Kernel info:
; codeLenInByte = 1692
; TotalNumSgprs: 30
; NumVgprs: 15
; ScratchSize: 0
; MemoryBound: 0
; FloatMode: 240
; IeeeMode: 1
; LDSByteSize: 2048 bytes/workgroup (compile time only)
; SGPRBlocks: 3
; VGPRBlocks: 3
; NumSGPRsForWavesPerEU: 30
; NumVGPRsForWavesPerEU: 15
; Occupancy: 10
; WaveLimiterHint : 0
; COMPUTE_PGM_RSRC2:SCRATCH_EN: 0
; COMPUTE_PGM_RSRC2:USER_SGPR: 6
; COMPUTE_PGM_RSRC2:TRAP_HANDLER: 0
; COMPUTE_PGM_RSRC2:TGID_X_EN: 1
; COMPUTE_PGM_RSRC2:TGID_Y_EN: 0
; COMPUTE_PGM_RSRC2:TGID_Z_EN: 0
; COMPUTE_PGM_RSRC2:TIDIG_COMP_CNT: 0
	.section	.text._ZN9rocsparseL16sddmm_ell_kernelILi512ELi1EfllDF16_DF16_fEEv20rocsparse_operation_S1_16rocsparse_order_S2_T3_S3_S3_T2_NS_24const_host_device_scalarIT1_EEPKT4_lPKT5_lS7_PT6_PKS3_21rocsparse_index_base_b,"axG",@progbits,_ZN9rocsparseL16sddmm_ell_kernelILi512ELi1EfllDF16_DF16_fEEv20rocsparse_operation_S1_16rocsparse_order_S2_T3_S3_S3_T2_NS_24const_host_device_scalarIT1_EEPKT4_lPKT5_lS7_PT6_PKS3_21rocsparse_index_base_b,comdat
	.globl	_ZN9rocsparseL16sddmm_ell_kernelILi512ELi1EfllDF16_DF16_fEEv20rocsparse_operation_S1_16rocsparse_order_S2_T3_S3_S3_T2_NS_24const_host_device_scalarIT1_EEPKT4_lPKT5_lS7_PT6_PKS3_21rocsparse_index_base_b ; -- Begin function _ZN9rocsparseL16sddmm_ell_kernelILi512ELi1EfllDF16_DF16_fEEv20rocsparse_operation_S1_16rocsparse_order_S2_T3_S3_S3_T2_NS_24const_host_device_scalarIT1_EEPKT4_lPKT5_lS7_PT6_PKS3_21rocsparse_index_base_b
	.p2align	8
	.type	_ZN9rocsparseL16sddmm_ell_kernelILi512ELi1EfllDF16_DF16_fEEv20rocsparse_operation_S1_16rocsparse_order_S2_T3_S3_S3_T2_NS_24const_host_device_scalarIT1_EEPKT4_lPKT5_lS7_PT6_PKS3_21rocsparse_index_base_b,@function
_ZN9rocsparseL16sddmm_ell_kernelILi512ELi1EfllDF16_DF16_fEEv20rocsparse_operation_S1_16rocsparse_order_S2_T3_S3_S3_T2_NS_24const_host_device_scalarIT1_EEPKT4_lPKT5_lS7_PT6_PKS3_21rocsparse_index_base_b: ; @_ZN9rocsparseL16sddmm_ell_kernelILi512ELi1EfllDF16_DF16_fEEv20rocsparse_operation_S1_16rocsparse_order_S2_T3_S3_S3_T2_NS_24const_host_device_scalarIT1_EEPKT4_lPKT5_lS7_PT6_PKS3_21rocsparse_index_base_b
; %bb.0:
	s_load_dwordx2 s[18:19], s[4:5], 0x70
	s_load_dwordx2 s[16:17], s[4:5], 0x30
	s_load_dwordx4 s[8:11], s[4:5], 0x50
	s_waitcnt lgkmcnt(0)
	s_bitcmp1_b32 s19, 0
	s_cselect_b64 s[2:3], -1, 0
	s_xor_b64 s[0:1], s[2:3], -1
	s_and_b64 vcc, exec, s[2:3]
	s_cbranch_vccnz .LBB67_2
; %bb.1:
	s_load_dword s16, s[16:17], 0x0
.LBB67_2:
	s_andn2_b64 vcc, exec, s[0:1]
	s_cbranch_vccnz .LBB67_4
; %bb.3:
	s_load_dword s10, s[10:11], 0x0
.LBB67_4:
	s_waitcnt lgkmcnt(0)
	v_cmp_eq_f32_e64 s[0:1], s16, 0
	v_cmp_eq_f32_e64 s[2:3], s10, 1.0
	s_and_b64 s[0:1], s[0:1], s[2:3]
	s_and_b64 vcc, exec, s[0:1]
	s_cbranch_vccnz .LBB67_32
; %bb.5:
	s_load_dwordx4 s[12:15], s[4:5], 0x20
	v_lshl_or_b32 v1, s6, 9, v0
	v_mov_b32_e32 v2, 0
	s_waitcnt lgkmcnt(0)
	v_cmp_gt_i64_e32 vcc, s[14:15], v[1:2]
	s_and_saveexec_b64 s[0:1], vcc
	s_cbranch_execz .LBB67_32
; %bb.6:
	s_load_dwordx2 s[14:15], s[4:5], 0x10
	s_load_dwordx2 s[6:7], s[4:5], 0x68
	s_mov_b32 s0, 0
                                        ; implicit-def: $vgpr7_vgpr8
	s_waitcnt lgkmcnt(0)
	s_mov_b32 s1, s15
	s_cmp_lg_u64 s[0:1], 0
	s_cselect_b64 s[0:1], -1, 0
	s_and_saveexec_b64 s[2:3], s[0:1]
	s_xor_b64 s[20:21], exec, s[2:3]
	s_cbranch_execz .LBB67_8
; %bb.7:
	s_ashr_i32 s0, s15, 31
	s_add_u32 s2, s14, s0
	s_mov_b32 s1, s0
	s_addc_u32 s3, s15, s0
	s_xor_b64 s[22:23], s[2:3], s[0:1]
	v_cvt_f32_u32_e32 v3, s22
	v_cvt_f32_u32_e32 v4, s23
	s_sub_u32 s2, 0, s22
	s_subb_u32 s3, 0, s23
	v_add_co_u32_e32 v7, vcc, 0, v1
	v_madmk_f32 v3, v4, 0x4f800000, v3
	v_rcp_f32_e32 v3, v3
	v_mul_f32_e32 v3, 0x5f7ffffc, v3
	v_mul_f32_e32 v4, 0x2f800000, v3
	v_trunc_f32_e32 v4, v4
	v_madmk_f32 v3, v4, 0xcf800000, v3
	v_cvt_u32_f32_e32 v4, v4
	v_cvt_u32_f32_e32 v3, v3
	v_readfirstlane_b32 s11, v4
	v_readfirstlane_b32 s0, v3
	s_mul_i32 s1, s2, s11
	s_mul_hi_u32 s17, s2, s0
	s_mul_i32 s15, s3, s0
	s_add_i32 s1, s17, s1
	s_add_i32 s1, s1, s15
	s_mul_i32 s19, s2, s0
	s_mul_i32 s17, s0, s1
	s_mul_hi_u32 s24, s0, s19
	s_mul_hi_u32 s15, s0, s1
	s_add_u32 s17, s24, s17
	s_addc_u32 s15, 0, s15
	s_mul_hi_u32 s25, s11, s19
	s_mul_i32 s19, s11, s19
	s_add_u32 s17, s17, s19
	s_mul_hi_u32 s24, s11, s1
	s_addc_u32 s15, s15, s25
	s_addc_u32 s17, s24, 0
	s_mul_i32 s1, s11, s1
	s_add_u32 s1, s15, s1
	s_addc_u32 s15, 0, s17
	s_add_u32 s17, s0, s1
	s_cselect_b64 s[0:1], -1, 0
	s_cmp_lg_u64 s[0:1], 0
	s_addc_u32 s11, s11, s15
	s_mul_i32 s0, s2, s11
	s_mul_hi_u32 s1, s2, s17
	s_add_i32 s0, s1, s0
	s_mul_i32 s3, s3, s17
	s_add_i32 s0, s0, s3
	s_mul_i32 s2, s2, s17
	s_mul_hi_u32 s3, s11, s2
	s_mul_i32 s15, s11, s2
	s_mul_i32 s24, s17, s0
	s_mul_hi_u32 s2, s17, s2
	s_mul_hi_u32 s19, s17, s0
	s_add_u32 s2, s2, s24
	s_addc_u32 s19, 0, s19
	s_add_u32 s2, s2, s15
	s_mul_hi_u32 s1, s11, s0
	s_addc_u32 s2, s19, s3
	s_addc_u32 s1, s1, 0
	s_mul_i32 s0, s11, s0
	s_add_u32 s0, s2, s0
	s_addc_u32 s2, 0, s1
	s_add_u32 s3, s17, s0
	s_cselect_b64 s[0:1], -1, 0
	s_cmp_lg_u64 s[0:1], 0
	s_addc_u32 s2, s11, s2
	v_mad_u64_u32 v[3:4], s[0:1], v7, s2, 0
	v_mul_hi_u32 v5, v7, s3
	v_addc_co_u32_e64 v8, s[0:1], 0, 0, vcc
	v_add_co_u32_e32 v9, vcc, v5, v3
	v_addc_co_u32_e32 v10, vcc, 0, v4, vcc
	v_mad_u64_u32 v[3:4], s[0:1], v8, s3, 0
	v_mad_u64_u32 v[5:6], s[0:1], v8, s2, 0
	v_add_co_u32_e32 v3, vcc, v9, v3
	v_addc_co_u32_e32 v3, vcc, v10, v4, vcc
	v_addc_co_u32_e32 v4, vcc, 0, v6, vcc
	v_add_co_u32_e32 v3, vcc, v3, v5
	v_addc_co_u32_e32 v4, vcc, 0, v4, vcc
	v_mul_lo_u32 v5, s23, v3
	v_mul_lo_u32 v6, s22, v4
	v_mad_u64_u32 v[3:4], s[0:1], s22, v3, 0
	v_add3_u32 v4, v4, v6, v5
	v_sub_u32_e32 v5, v8, v4
	v_mov_b32_e32 v6, s23
	v_sub_co_u32_e32 v3, vcc, v7, v3
	v_subb_co_u32_e64 v5, s[0:1], v5, v6, vcc
	v_subrev_co_u32_e64 v7, s[0:1], s22, v3
	v_subbrev_co_u32_e64 v9, s[2:3], 0, v5, s[0:1]
	v_cmp_le_u32_e64 s[2:3], s23, v9
	v_cndmask_b32_e64 v10, 0, -1, s[2:3]
	v_cmp_le_u32_e64 s[2:3], s22, v7
	v_subb_co_u32_e64 v5, s[0:1], v5, v6, s[0:1]
	v_cndmask_b32_e64 v11, 0, -1, s[2:3]
	v_cmp_eq_u32_e64 s[2:3], s23, v9
	v_subrev_co_u32_e64 v6, s[0:1], s22, v7
	v_subb_co_u32_e32 v4, vcc, v8, v4, vcc
	v_cndmask_b32_e64 v10, v10, v11, s[2:3]
	v_subbrev_co_u32_e64 v5, s[0:1], 0, v5, s[0:1]
	v_cmp_le_u32_e32 vcc, s23, v4
	v_cmp_ne_u32_e64 s[0:1], 0, v10
	v_cndmask_b32_e64 v8, 0, -1, vcc
	v_cmp_le_u32_e32 vcc, s22, v3
	v_cndmask_b32_e64 v5, v9, v5, s[0:1]
	v_cndmask_b32_e64 v9, 0, -1, vcc
	v_cmp_eq_u32_e32 vcc, s23, v4
	v_cndmask_b32_e32 v8, v8, v9, vcc
	v_cmp_ne_u32_e32 vcc, 0, v8
	v_cndmask_b32_e32 v4, v4, v5, vcc
	v_cndmask_b32_e64 v5, v7, v6, s[0:1]
	v_cndmask_b32_e32 v3, v3, v5, vcc
	v_subrev_co_u32_e32 v7, vcc, 0, v3
	v_subbrev_co_u32_e32 v8, vcc, 0, v4, vcc
.LBB67_8:
	s_andn2_saveexec_b64 s[0:1], s[20:21]
	s_cbranch_execz .LBB67_10
; %bb.9:
	v_cvt_f32_u32_e32 v3, s14
	s_sub_i32 s2, 0, s14
	v_mov_b32_e32 v8, 0
	v_rcp_iflag_f32_e32 v3, v3
	v_mul_f32_e32 v3, 0x4f7ffffe, v3
	v_cvt_u32_f32_e32 v3, v3
	v_mul_lo_u32 v4, s2, v3
	v_mul_hi_u32 v4, v3, v4
	v_add_u32_e32 v3, v3, v4
	v_mul_hi_u32 v3, v1, v3
	v_mul_lo_u32 v3, v3, s14
	v_sub_u32_e32 v3, v1, v3
	v_subrev_u32_e32 v4, s14, v3
	v_cmp_le_u32_e32 vcc, s14, v3
	v_cndmask_b32_e32 v3, v3, v4, vcc
	v_subrev_u32_e32 v4, s14, v3
	v_cmp_le_u32_e32 vcc, s14, v3
	v_cndmask_b32_e32 v7, v3, v4, vcc
.LBB67_10:
	s_or_b64 exec, exec, s[0:1]
	v_lshlrev_b64 v[3:4], 3, v[1:2]
	v_mov_b32_e32 v5, s7
	v_add_co_u32_e32 v3, vcc, s6, v3
	v_addc_co_u32_e32 v4, vcc, v5, v4, vcc
	global_load_dwordx2 v[3:4], v[3:4], off
	s_mov_b64 s[22:23], -1
	s_waitcnt vmcnt(0)
	v_subrev_co_u32_e32 v3, vcc, s18, v3
	v_subbrev_co_u32_e32 v4, vcc, 0, v4, vcc
	v_cmp_lt_i64_e32 vcc, -1, v[3:4]
	s_and_b64 exec, exec, vcc
	s_cbranch_execz .LBB67_32
; %bb.11:
	s_load_dwordx4 s[0:3], s[4:5], 0x0
	s_load_dwordx2 s[6:7], s[4:5], 0x40
                                        ; implicit-def: $vgpr5_vgpr6
	s_waitcnt lgkmcnt(0)
	s_cmp_eq_u32 s2, 1
	s_cselect_b64 s[14:15], -1, 0
	s_cmpk_eq_i32 s0, 0x6f
	s_cselect_b64 s[18:19], -1, 0
	s_cmpk_lg_i32 s0, 0x6f
	s_cselect_b64 s[20:21], -1, 0
	s_cmp_lg_u32 s2, 1
	s_cbranch_scc0 .LBB67_15
; %bb.12:
	v_mov_b32_e32 v5, v7
	s_andn2_b64 vcc, exec, s[18:19]
	v_mov_b32_e32 v6, v8
	s_cbranch_vccnz .LBB67_14
; %bb.13:
	v_mul_lo_u32 v9, v8, s6
	v_mul_lo_u32 v10, v7, s7
	v_mad_u64_u32 v[5:6], s[22:23], v7, s6, 0
	v_add3_u32 v6, v6, v10, v9
.LBB67_14:
	s_mov_b64 s[22:23], 0
.LBB67_15:
	s_andn2_b64 vcc, exec, s[22:23]
	s_cbranch_vccnz .LBB67_19
; %bb.16:
	s_andn2_b64 vcc, exec, s[20:21]
	s_cbranch_vccnz .LBB67_18
; %bb.17:
	v_mul_lo_u32 v5, v8, s6
	v_mul_lo_u32 v6, v7, s7
	v_mad_u64_u32 v[7:8], s[20:21], v7, s6, 0
	v_add3_u32 v8, v8, v6, v5
.LBB67_18:
	v_mov_b32_e32 v5, v7
	v_mov_b32_e32 v6, v8
.LBB67_19:
	s_cmp_eq_u32 s3, 1
	s_cselect_b64 s[20:21], -1, 0
	s_cmpk_eq_i32 s1, 0x6f
	s_cselect_b64 s[22:23], -1, 0
	s_cmpk_lg_i32 s1, 0x6f
	s_cselect_b64 s[0:1], -1, 0
	s_cmp_lg_u32 s3, 1
	s_cbranch_scc0 .LBB67_23
; %bb.20:
	v_mov_b32_e32 v8, v4
	s_andn2_b64 vcc, exec, s[0:1]
	v_mov_b32_e32 v7, v3
	s_cbranch_vccnz .LBB67_22
; %bb.21:
	v_mul_lo_u32 v9, v4, s8
	v_mul_lo_u32 v10, v3, s9
	v_mad_u64_u32 v[7:8], s[0:1], v3, s8, 0
	v_add3_u32 v8, v8, v10, v9
.LBB67_22:
	s_cbranch_execz .LBB67_24
	s_branch .LBB67_27
.LBB67_23:
                                        ; implicit-def: $vgpr7_vgpr8
.LBB67_24:
	s_andn2_b64 vcc, exec, s[22:23]
	s_cbranch_vccnz .LBB67_26
; %bb.25:
	v_mul_lo_u32 v7, v4, s8
	v_mul_lo_u32 v8, v3, s9
	v_mad_u64_u32 v[3:4], s[0:1], v3, s8, 0
	v_add3_u32 v4, v4, v8, v7
.LBB67_26:
	v_mov_b32_e32 v8, v4
	v_mov_b32_e32 v7, v3
.LBB67_27:
	s_load_dwordx2 s[0:1], s[4:5], 0x60
	v_cmp_lt_i64_e64 s[2:3], s[12:13], 1
	s_and_b64 vcc, exec, s[2:3]
	s_cbranch_vccnz .LBB67_30
; %bb.28:
	s_load_dwordx2 s[2:3], s[4:5], 0x48
	s_load_dwordx2 s[24:25], s[4:5], 0x38
	v_lshlrev_b64 v[3:4], 1, v[7:8]
	v_lshlrev_b64 v[5:6], 1, v[5:6]
	s_waitcnt lgkmcnt(0)
	v_mov_b32_e32 v7, s3
	v_add_co_u32_e32 v3, vcc, s2, v3
	s_xor_b64 s[2:3], s[18:19], s[14:15]
	s_and_b64 s[2:3], s[2:3], exec
	s_cselect_b32 s5, 0, s7
	s_cselect_b32 s4, 1, s6
	s_xor_b64 s[2:3], s[22:23], s[20:21]
	s_and_b64 s[2:3], s[2:3], exec
	v_addc_co_u32_e32 v4, vcc, v7, v4, vcc
	s_cselect_b32 s3, s9, 0
	s_cselect_b32 s2, s8, 1
	v_mov_b32_e32 v7, s25
	v_add_co_u32_e32 v5, vcc, s24, v5
	s_lshl_b64 s[2:3], s[2:3], 1
	s_lshl_b64 s[4:5], s[4:5], 1
	v_addc_co_u32_e32 v6, vcc, v7, v6, vcc
	v_mov_b32_e32 v7, 0
	v_mov_b32_e32 v8, s3
	;; [unrolled: 1-line block ×3, first 2 shown]
.LBB67_29:                              ; =>This Inner Loop Header: Depth=1
	global_load_ushort v10, v[5:6], off
	global_load_ushort v11, v[3:4], off
	v_add_co_u32_e32 v3, vcc, s2, v3
	s_add_u32 s12, s12, -1
	v_addc_co_u32_e32 v4, vcc, v4, v8, vcc
	v_add_co_u32_e32 v5, vcc, s4, v5
	s_addc_u32 s13, s13, -1
	v_addc_co_u32_e32 v6, vcc, v6, v9, vcc
	s_cmp_eq_u64 s[12:13], 0
	s_waitcnt vmcnt(0)
	v_mul_f16_e32 v10, v10, v11
	v_cvt_f32_f16_e32 v10, v10
	v_add_f32_e32 v7, v7, v10
	s_cbranch_scc0 .LBB67_29
	s_branch .LBB67_31
.LBB67_30:
	v_mov_b32_e32 v7, 0
.LBB67_31:
	v_lshlrev_b32_e32 v3, 2, v0
	v_lshlrev_b64 v[0:1], 2, v[1:2]
	s_waitcnt lgkmcnt(0)
	v_mov_b32_e32 v2, s1
	v_add_co_u32_e32 v0, vcc, s0, v0
	v_addc_co_u32_e32 v1, vcc, v2, v1, vcc
	ds_write_b32 v3, v7
	s_waitcnt lgkmcnt(0)
	s_barrier
	global_load_dword v2, v[0:1], off
	ds_read_b32 v3, v3
	s_waitcnt lgkmcnt(0)
	v_mul_f32_e32 v3, s16, v3
	s_waitcnt vmcnt(0)
	v_fmac_f32_e32 v3, s10, v2
	global_store_dword v[0:1], v3, off
.LBB67_32:
	s_endpgm
	.section	.rodata,"a",@progbits
	.p2align	6, 0x0
	.amdhsa_kernel _ZN9rocsparseL16sddmm_ell_kernelILi512ELi1EfllDF16_DF16_fEEv20rocsparse_operation_S1_16rocsparse_order_S2_T3_S3_S3_T2_NS_24const_host_device_scalarIT1_EEPKT4_lPKT5_lS7_PT6_PKS3_21rocsparse_index_base_b
		.amdhsa_group_segment_fixed_size 2048
		.amdhsa_private_segment_fixed_size 0
		.amdhsa_kernarg_size 120
		.amdhsa_user_sgpr_count 6
		.amdhsa_user_sgpr_private_segment_buffer 1
		.amdhsa_user_sgpr_dispatch_ptr 0
		.amdhsa_user_sgpr_queue_ptr 0
		.amdhsa_user_sgpr_kernarg_segment_ptr 1
		.amdhsa_user_sgpr_dispatch_id 0
		.amdhsa_user_sgpr_flat_scratch_init 0
		.amdhsa_user_sgpr_private_segment_size 0
		.amdhsa_uses_dynamic_stack 0
		.amdhsa_system_sgpr_private_segment_wavefront_offset 0
		.amdhsa_system_sgpr_workgroup_id_x 1
		.amdhsa_system_sgpr_workgroup_id_y 0
		.amdhsa_system_sgpr_workgroup_id_z 0
		.amdhsa_system_sgpr_workgroup_info 0
		.amdhsa_system_vgpr_workitem_id 0
		.amdhsa_next_free_vgpr 12
		.amdhsa_next_free_sgpr 26
		.amdhsa_reserve_vcc 1
		.amdhsa_reserve_flat_scratch 0
		.amdhsa_float_round_mode_32 0
		.amdhsa_float_round_mode_16_64 0
		.amdhsa_float_denorm_mode_32 3
		.amdhsa_float_denorm_mode_16_64 3
		.amdhsa_dx10_clamp 1
		.amdhsa_ieee_mode 1
		.amdhsa_fp16_overflow 0
		.amdhsa_exception_fp_ieee_invalid_op 0
		.amdhsa_exception_fp_denorm_src 0
		.amdhsa_exception_fp_ieee_div_zero 0
		.amdhsa_exception_fp_ieee_overflow 0
		.amdhsa_exception_fp_ieee_underflow 0
		.amdhsa_exception_fp_ieee_inexact 0
		.amdhsa_exception_int_div_zero 0
	.end_amdhsa_kernel
	.section	.text._ZN9rocsparseL16sddmm_ell_kernelILi512ELi1EfllDF16_DF16_fEEv20rocsparse_operation_S1_16rocsparse_order_S2_T3_S3_S3_T2_NS_24const_host_device_scalarIT1_EEPKT4_lPKT5_lS7_PT6_PKS3_21rocsparse_index_base_b,"axG",@progbits,_ZN9rocsparseL16sddmm_ell_kernelILi512ELi1EfllDF16_DF16_fEEv20rocsparse_operation_S1_16rocsparse_order_S2_T3_S3_S3_T2_NS_24const_host_device_scalarIT1_EEPKT4_lPKT5_lS7_PT6_PKS3_21rocsparse_index_base_b,comdat
.Lfunc_end67:
	.size	_ZN9rocsparseL16sddmm_ell_kernelILi512ELi1EfllDF16_DF16_fEEv20rocsparse_operation_S1_16rocsparse_order_S2_T3_S3_S3_T2_NS_24const_host_device_scalarIT1_EEPKT4_lPKT5_lS7_PT6_PKS3_21rocsparse_index_base_b, .Lfunc_end67-_ZN9rocsparseL16sddmm_ell_kernelILi512ELi1EfllDF16_DF16_fEEv20rocsparse_operation_S1_16rocsparse_order_S2_T3_S3_S3_T2_NS_24const_host_device_scalarIT1_EEPKT4_lPKT5_lS7_PT6_PKS3_21rocsparse_index_base_b
                                        ; -- End function
	.set _ZN9rocsparseL16sddmm_ell_kernelILi512ELi1EfllDF16_DF16_fEEv20rocsparse_operation_S1_16rocsparse_order_S2_T3_S3_S3_T2_NS_24const_host_device_scalarIT1_EEPKT4_lPKT5_lS7_PT6_PKS3_21rocsparse_index_base_b.num_vgpr, 12
	.set _ZN9rocsparseL16sddmm_ell_kernelILi512ELi1EfllDF16_DF16_fEEv20rocsparse_operation_S1_16rocsparse_order_S2_T3_S3_S3_T2_NS_24const_host_device_scalarIT1_EEPKT4_lPKT5_lS7_PT6_PKS3_21rocsparse_index_base_b.num_agpr, 0
	.set _ZN9rocsparseL16sddmm_ell_kernelILi512ELi1EfllDF16_DF16_fEEv20rocsparse_operation_S1_16rocsparse_order_S2_T3_S3_S3_T2_NS_24const_host_device_scalarIT1_EEPKT4_lPKT5_lS7_PT6_PKS3_21rocsparse_index_base_b.numbered_sgpr, 26
	.set _ZN9rocsparseL16sddmm_ell_kernelILi512ELi1EfllDF16_DF16_fEEv20rocsparse_operation_S1_16rocsparse_order_S2_T3_S3_S3_T2_NS_24const_host_device_scalarIT1_EEPKT4_lPKT5_lS7_PT6_PKS3_21rocsparse_index_base_b.num_named_barrier, 0
	.set _ZN9rocsparseL16sddmm_ell_kernelILi512ELi1EfllDF16_DF16_fEEv20rocsparse_operation_S1_16rocsparse_order_S2_T3_S3_S3_T2_NS_24const_host_device_scalarIT1_EEPKT4_lPKT5_lS7_PT6_PKS3_21rocsparse_index_base_b.private_seg_size, 0
	.set _ZN9rocsparseL16sddmm_ell_kernelILi512ELi1EfllDF16_DF16_fEEv20rocsparse_operation_S1_16rocsparse_order_S2_T3_S3_S3_T2_NS_24const_host_device_scalarIT1_EEPKT4_lPKT5_lS7_PT6_PKS3_21rocsparse_index_base_b.uses_vcc, 1
	.set _ZN9rocsparseL16sddmm_ell_kernelILi512ELi1EfllDF16_DF16_fEEv20rocsparse_operation_S1_16rocsparse_order_S2_T3_S3_S3_T2_NS_24const_host_device_scalarIT1_EEPKT4_lPKT5_lS7_PT6_PKS3_21rocsparse_index_base_b.uses_flat_scratch, 0
	.set _ZN9rocsparseL16sddmm_ell_kernelILi512ELi1EfllDF16_DF16_fEEv20rocsparse_operation_S1_16rocsparse_order_S2_T3_S3_S3_T2_NS_24const_host_device_scalarIT1_EEPKT4_lPKT5_lS7_PT6_PKS3_21rocsparse_index_base_b.has_dyn_sized_stack, 0
	.set _ZN9rocsparseL16sddmm_ell_kernelILi512ELi1EfllDF16_DF16_fEEv20rocsparse_operation_S1_16rocsparse_order_S2_T3_S3_S3_T2_NS_24const_host_device_scalarIT1_EEPKT4_lPKT5_lS7_PT6_PKS3_21rocsparse_index_base_b.has_recursion, 0
	.set _ZN9rocsparseL16sddmm_ell_kernelILi512ELi1EfllDF16_DF16_fEEv20rocsparse_operation_S1_16rocsparse_order_S2_T3_S3_S3_T2_NS_24const_host_device_scalarIT1_EEPKT4_lPKT5_lS7_PT6_PKS3_21rocsparse_index_base_b.has_indirect_call, 0
	.section	.AMDGPU.csdata,"",@progbits
; Kernel info:
; codeLenInByte = 1524
; TotalNumSgprs: 30
; NumVgprs: 12
; ScratchSize: 0
; MemoryBound: 0
; FloatMode: 240
; IeeeMode: 1
; LDSByteSize: 2048 bytes/workgroup (compile time only)
; SGPRBlocks: 3
; VGPRBlocks: 2
; NumSGPRsForWavesPerEU: 30
; NumVGPRsForWavesPerEU: 12
; Occupancy: 10
; WaveLimiterHint : 0
; COMPUTE_PGM_RSRC2:SCRATCH_EN: 0
; COMPUTE_PGM_RSRC2:USER_SGPR: 6
; COMPUTE_PGM_RSRC2:TRAP_HANDLER: 0
; COMPUTE_PGM_RSRC2:TGID_X_EN: 1
; COMPUTE_PGM_RSRC2:TGID_Y_EN: 0
; COMPUTE_PGM_RSRC2:TGID_Z_EN: 0
; COMPUTE_PGM_RSRC2:TIDIG_COMP_CNT: 0
	.section	.AMDGPU.gpr_maximums,"",@progbits
	.set amdgpu.max_num_vgpr, 0
	.set amdgpu.max_num_agpr, 0
	.set amdgpu.max_num_sgpr, 0
	.section	.AMDGPU.csdata,"",@progbits
	.type	__hip_cuid_b0ac5b633b02b56e,@object ; @__hip_cuid_b0ac5b633b02b56e
	.section	.bss,"aw",@nobits
	.globl	__hip_cuid_b0ac5b633b02b56e
__hip_cuid_b0ac5b633b02b56e:
	.byte	0                               ; 0x0
	.size	__hip_cuid_b0ac5b633b02b56e, 1

	.ident	"AMD clang version 22.0.0git (https://github.com/RadeonOpenCompute/llvm-project roc-7.2.4 26084 f58b06dce1f9c15707c5f808fd002e18c2accf7e)"
	.section	".note.GNU-stack","",@progbits
	.addrsig
	.addrsig_sym __hip_cuid_b0ac5b633b02b56e
	.amdgpu_metadata
---
amdhsa.kernels:
  - .args:
      - .offset:         0
        .size:           4
        .value_kind:     by_value
      - .offset:         4
        .size:           4
        .value_kind:     by_value
      - .actual_access:  read_only
        .address_space:  global
        .offset:         8
        .size:           8
        .value_kind:     global_buffer
      - .offset:         16
        .size:           8
        .value_kind:     by_value
      - .offset:         24
        .size:           4
        .value_kind:     by_value
      - .actual_access:  write_only
        .address_space:  global
        .offset:         32
        .size:           8
        .value_kind:     global_buffer
      - .actual_access:  read_only
        .address_space:  global
        .offset:         40
        .size:           8
        .value_kind:     global_buffer
      - .offset:         48
        .size:           4
        .value_kind:     by_value
    .group_segment_fixed_size: 0
    .kernarg_segment_align: 8
    .kernarg_segment_size: 52
    .language:       OpenCL C
    .language_version:
      - 2
      - 0
    .max_flat_workgroup_size: 512
    .name:           _ZN9rocsparseL23sddmm_ell_sample_kernelILi16ELi32EDF16_iDF16_EEvT2_S1_PKT3_lS1_PS2_PKS1_21rocsparse_index_base_
    .private_segment_fixed_size: 0
    .sgpr_count:     24
    .sgpr_spill_count: 0
    .symbol:         _ZN9rocsparseL23sddmm_ell_sample_kernelILi16ELi32EDF16_iDF16_EEvT2_S1_PKT3_lS1_PS2_PKS1_21rocsparse_index_base_.kd
    .uniform_work_group_size: 1
    .uses_dynamic_stack: false
    .vgpr_count:     11
    .vgpr_spill_count: 0
    .wavefront_size: 64
  - .args:
      - .offset:         0
        .size:           4
        .value_kind:     by_value
      - .offset:         4
        .size:           4
        .value_kind:     by_value
      - .actual_access:  read_only
        .address_space:  global
        .offset:         8
        .size:           8
        .value_kind:     global_buffer
      - .offset:         16
        .size:           8
        .value_kind:     by_value
      - .offset:         24
        .size:           4
        .value_kind:     by_value
      - .actual_access:  write_only
        .address_space:  global
        .offset:         32
        .size:           8
        .value_kind:     global_buffer
      - .actual_access:  read_only
        .address_space:  global
        .offset:         40
        .size:           8
        .value_kind:     global_buffer
      - .offset:         48
        .size:           4
        .value_kind:     by_value
    .group_segment_fixed_size: 0
    .kernarg_segment_align: 8
    .kernarg_segment_size: 52
    .language:       OpenCL C
    .language_version:
      - 2
      - 0
    .max_flat_workgroup_size: 1024
    .name:           _ZN9rocsparseL23sddmm_ell_sample_kernelILi16ELi64EDF16_iDF16_EEvT2_S1_PKT3_lS1_PS2_PKS1_21rocsparse_index_base_
    .private_segment_fixed_size: 0
    .sgpr_count:     24
    .sgpr_spill_count: 0
    .symbol:         _ZN9rocsparseL23sddmm_ell_sample_kernelILi16ELi64EDF16_iDF16_EEvT2_S1_PKT3_lS1_PS2_PKS1_21rocsparse_index_base_.kd
    .uniform_work_group_size: 1
    .uses_dynamic_stack: false
    .vgpr_count:     11
    .vgpr_spill_count: 0
    .wavefront_size: 64
  - .args:
      - .offset:         0
        .size:           4
        .value_kind:     by_value
      - .offset:         4
        .size:           4
        .value_kind:     by_value
      - .offset:         8
        .size:           4
        .value_kind:     by_value
      - .offset:         12
        .size:           4
        .value_kind:     by_value
      - .offset:         16
        .size:           4
        .value_kind:     by_value
      - .offset:         20
        .size:           4
        .value_kind:     by_value
      - .offset:         24
        .size:           4
        .value_kind:     by_value
      - .offset:         28
        .size:           4
        .value_kind:     by_value
      - .offset:         32
        .size:           8
        .value_kind:     by_value
      - .actual_access:  read_only
        .address_space:  global
        .offset:         40
        .size:           8
        .value_kind:     global_buffer
      - .offset:         48
        .size:           8
        .value_kind:     by_value
      - .actual_access:  read_only
        .address_space:  global
        .offset:         56
        .size:           8
        .value_kind:     global_buffer
      - .offset:         64
        .size:           8
        .value_kind:     by_value
      - .offset:         72
        .size:           8
        .value_kind:     by_value
      - .address_space:  global
        .offset:         80
        .size:           8
        .value_kind:     global_buffer
      - .actual_access:  read_only
        .address_space:  global
        .offset:         88
        .size:           8
        .value_kind:     global_buffer
      - .offset:         96
        .size:           4
        .value_kind:     by_value
      - .offset:         100
        .size:           1
        .value_kind:     by_value
    .group_segment_fixed_size: 1024
    .kernarg_segment_align: 8
    .kernarg_segment_size: 104
    .language:       OpenCL C
    .language_version:
      - 2
      - 0
    .max_flat_workgroup_size: 512
    .name:           _ZN9rocsparseL16sddmm_ell_kernelILi512ELi8EDF16_iiDF16_DF16_DF16_EEv20rocsparse_operation_S1_16rocsparse_order_S2_T3_S3_S3_T2_NS_24const_host_device_scalarIT1_EEPKT4_lPKT5_lS7_PT6_PKS3_21rocsparse_index_base_b
    .private_segment_fixed_size: 0
    .sgpr_count:     26
    .sgpr_spill_count: 0
    .symbol:         _ZN9rocsparseL16sddmm_ell_kernelILi512ELi8EDF16_iiDF16_DF16_DF16_EEv20rocsparse_operation_S1_16rocsparse_order_S2_T3_S3_S3_T2_NS_24const_host_device_scalarIT1_EEPKT4_lPKT5_lS7_PT6_PKS3_21rocsparse_index_base_b.kd
    .uniform_work_group_size: 1
    .uses_dynamic_stack: false
    .vgpr_count:     17
    .vgpr_spill_count: 0
    .wavefront_size: 64
  - .args:
      - .offset:         0
        .size:           4
        .value_kind:     by_value
      - .offset:         4
        .size:           4
        .value_kind:     by_value
      - .offset:         8
        .size:           4
        .value_kind:     by_value
      - .offset:         12
        .size:           4
        .value_kind:     by_value
      - .offset:         16
        .size:           4
        .value_kind:     by_value
      - .offset:         20
        .size:           4
        .value_kind:     by_value
      - .offset:         24
        .size:           4
        .value_kind:     by_value
      - .offset:         28
        .size:           4
        .value_kind:     by_value
      - .offset:         32
        .size:           8
        .value_kind:     by_value
      - .actual_access:  read_only
        .address_space:  global
        .offset:         40
        .size:           8
        .value_kind:     global_buffer
      - .offset:         48
        .size:           8
        .value_kind:     by_value
      - .actual_access:  read_only
        .address_space:  global
        .offset:         56
        .size:           8
        .value_kind:     global_buffer
      - .offset:         64
        .size:           8
        .value_kind:     by_value
      - .offset:         72
        .size:           8
        .value_kind:     by_value
      - .address_space:  global
        .offset:         80
        .size:           8
        .value_kind:     global_buffer
      - .actual_access:  read_only
        .address_space:  global
        .offset:         88
        .size:           8
        .value_kind:     global_buffer
      - .offset:         96
        .size:           4
        .value_kind:     by_value
      - .offset:         100
        .size:           1
        .value_kind:     by_value
    .group_segment_fixed_size: 1024
    .kernarg_segment_align: 8
    .kernarg_segment_size: 104
    .language:       OpenCL C
    .language_version:
      - 2
      - 0
    .max_flat_workgroup_size: 512
    .name:           _ZN9rocsparseL16sddmm_ell_kernelILi512ELi4EDF16_iiDF16_DF16_DF16_EEv20rocsparse_operation_S1_16rocsparse_order_S2_T3_S3_S3_T2_NS_24const_host_device_scalarIT1_EEPKT4_lPKT5_lS7_PT6_PKS3_21rocsparse_index_base_b
    .private_segment_fixed_size: 0
    .sgpr_count:     26
    .sgpr_spill_count: 0
    .symbol:         _ZN9rocsparseL16sddmm_ell_kernelILi512ELi4EDF16_iiDF16_DF16_DF16_EEv20rocsparse_operation_S1_16rocsparse_order_S2_T3_S3_S3_T2_NS_24const_host_device_scalarIT1_EEPKT4_lPKT5_lS7_PT6_PKS3_21rocsparse_index_base_b.kd
    .uniform_work_group_size: 1
    .uses_dynamic_stack: false
    .vgpr_count:     17
    .vgpr_spill_count: 0
    .wavefront_size: 64
  - .args:
      - .offset:         0
        .size:           4
        .value_kind:     by_value
      - .offset:         4
        .size:           4
        .value_kind:     by_value
      - .offset:         8
        .size:           4
        .value_kind:     by_value
      - .offset:         12
        .size:           4
        .value_kind:     by_value
      - .offset:         16
        .size:           4
        .value_kind:     by_value
      - .offset:         20
        .size:           4
        .value_kind:     by_value
      - .offset:         24
        .size:           4
        .value_kind:     by_value
      - .offset:         28
        .size:           4
        .value_kind:     by_value
      - .offset:         32
        .size:           8
        .value_kind:     by_value
      - .actual_access:  read_only
        .address_space:  global
        .offset:         40
        .size:           8
        .value_kind:     global_buffer
      - .offset:         48
        .size:           8
        .value_kind:     by_value
      - .actual_access:  read_only
        .address_space:  global
        .offset:         56
        .size:           8
        .value_kind:     global_buffer
      - .offset:         64
        .size:           8
        .value_kind:     by_value
      - .offset:         72
        .size:           8
        .value_kind:     by_value
      - .address_space:  global
        .offset:         80
        .size:           8
        .value_kind:     global_buffer
      - .actual_access:  read_only
        .address_space:  global
        .offset:         88
        .size:           8
        .value_kind:     global_buffer
      - .offset:         96
        .size:           4
        .value_kind:     by_value
      - .offset:         100
        .size:           1
        .value_kind:     by_value
    .group_segment_fixed_size: 1024
    .kernarg_segment_align: 8
    .kernarg_segment_size: 104
    .language:       OpenCL C
    .language_version:
      - 2
      - 0
    .max_flat_workgroup_size: 512
    .name:           _ZN9rocsparseL16sddmm_ell_kernelILi512ELi2EDF16_iiDF16_DF16_DF16_EEv20rocsparse_operation_S1_16rocsparse_order_S2_T3_S3_S3_T2_NS_24const_host_device_scalarIT1_EEPKT4_lPKT5_lS7_PT6_PKS3_21rocsparse_index_base_b
    .private_segment_fixed_size: 0
    .sgpr_count:     28
    .sgpr_spill_count: 0
    .symbol:         _ZN9rocsparseL16sddmm_ell_kernelILi512ELi2EDF16_iiDF16_DF16_DF16_EEv20rocsparse_operation_S1_16rocsparse_order_S2_T3_S3_S3_T2_NS_24const_host_device_scalarIT1_EEPKT4_lPKT5_lS7_PT6_PKS3_21rocsparse_index_base_b.kd
    .uniform_work_group_size: 1
    .uses_dynamic_stack: false
    .vgpr_count:     16
    .vgpr_spill_count: 0
    .wavefront_size: 64
  - .args:
      - .offset:         0
        .size:           4
        .value_kind:     by_value
      - .offset:         4
        .size:           4
        .value_kind:     by_value
      - .offset:         8
        .size:           4
        .value_kind:     by_value
      - .offset:         12
        .size:           4
        .value_kind:     by_value
      - .offset:         16
        .size:           4
        .value_kind:     by_value
      - .offset:         20
        .size:           4
        .value_kind:     by_value
      - .offset:         24
        .size:           4
        .value_kind:     by_value
      - .offset:         28
        .size:           4
        .value_kind:     by_value
      - .offset:         32
        .size:           8
        .value_kind:     by_value
      - .actual_access:  read_only
        .address_space:  global
        .offset:         40
        .size:           8
        .value_kind:     global_buffer
      - .offset:         48
        .size:           8
        .value_kind:     by_value
      - .actual_access:  read_only
        .address_space:  global
        .offset:         56
        .size:           8
        .value_kind:     global_buffer
      - .offset:         64
        .size:           8
        .value_kind:     by_value
      - .offset:         72
        .size:           8
        .value_kind:     by_value
      - .address_space:  global
        .offset:         80
        .size:           8
        .value_kind:     global_buffer
      - .actual_access:  read_only
        .address_space:  global
        .offset:         88
        .size:           8
        .value_kind:     global_buffer
      - .offset:         96
        .size:           4
        .value_kind:     by_value
      - .offset:         100
        .size:           1
        .value_kind:     by_value
    .group_segment_fixed_size: 1024
    .kernarg_segment_align: 8
    .kernarg_segment_size: 104
    .language:       OpenCL C
    .language_version:
      - 2
      - 0
    .max_flat_workgroup_size: 512
    .name:           _ZN9rocsparseL16sddmm_ell_kernelILi512ELi1EDF16_iiDF16_DF16_DF16_EEv20rocsparse_operation_S1_16rocsparse_order_S2_T3_S3_S3_T2_NS_24const_host_device_scalarIT1_EEPKT4_lPKT5_lS7_PT6_PKS3_21rocsparse_index_base_b
    .private_segment_fixed_size: 0
    .sgpr_count:     26
    .sgpr_spill_count: 0
    .symbol:         _ZN9rocsparseL16sddmm_ell_kernelILi512ELi1EDF16_iiDF16_DF16_DF16_EEv20rocsparse_operation_S1_16rocsparse_order_S2_T3_S3_S3_T2_NS_24const_host_device_scalarIT1_EEPKT4_lPKT5_lS7_PT6_PKS3_21rocsparse_index_base_b.kd
    .uniform_work_group_size: 1
    .uses_dynamic_stack: false
    .vgpr_count:     14
    .vgpr_spill_count: 0
    .wavefront_size: 64
  - .args:
      - .offset:         0
        .size:           4
        .value_kind:     by_value
      - .offset:         4
        .size:           4
        .value_kind:     by_value
      - .actual_access:  read_only
        .address_space:  global
        .offset:         8
        .size:           8
        .value_kind:     global_buffer
      - .offset:         16
        .size:           8
        .value_kind:     by_value
      - .offset:         24
        .size:           4
        .value_kind:     by_value
      - .actual_access:  write_only
        .address_space:  global
        .offset:         32
        .size:           8
        .value_kind:     global_buffer
      - .actual_access:  read_only
        .address_space:  global
        .offset:         40
        .size:           8
        .value_kind:     global_buffer
      - .offset:         48
        .size:           4
        .value_kind:     by_value
    .group_segment_fixed_size: 0
    .kernarg_segment_align: 8
    .kernarg_segment_size: 52
    .language:       OpenCL C
    .language_version:
      - 2
      - 0
    .max_flat_workgroup_size: 512
    .name:           _ZN9rocsparseL23sddmm_ell_sample_kernelILi16ELi32EfifEEvT2_S1_PKT3_lS1_PS2_PKS1_21rocsparse_index_base_
    .private_segment_fixed_size: 0
    .sgpr_count:     24
    .sgpr_spill_count: 0
    .symbol:         _ZN9rocsparseL23sddmm_ell_sample_kernelILi16ELi32EfifEEvT2_S1_PKT3_lS1_PS2_PKS1_21rocsparse_index_base_.kd
    .uniform_work_group_size: 1
    .uses_dynamic_stack: false
    .vgpr_count:     12
    .vgpr_spill_count: 0
    .wavefront_size: 64
  - .args:
      - .offset:         0
        .size:           4
        .value_kind:     by_value
      - .offset:         4
        .size:           4
        .value_kind:     by_value
      - .actual_access:  read_only
        .address_space:  global
        .offset:         8
        .size:           8
        .value_kind:     global_buffer
      - .offset:         16
        .size:           8
        .value_kind:     by_value
      - .offset:         24
        .size:           4
        .value_kind:     by_value
      - .actual_access:  write_only
        .address_space:  global
        .offset:         32
        .size:           8
        .value_kind:     global_buffer
      - .actual_access:  read_only
        .address_space:  global
        .offset:         40
        .size:           8
        .value_kind:     global_buffer
      - .offset:         48
        .size:           4
        .value_kind:     by_value
    .group_segment_fixed_size: 0
    .kernarg_segment_align: 8
    .kernarg_segment_size: 52
    .language:       OpenCL C
    .language_version:
      - 2
      - 0
    .max_flat_workgroup_size: 1024
    .name:           _ZN9rocsparseL23sddmm_ell_sample_kernelILi16ELi64EfifEEvT2_S1_PKT3_lS1_PS2_PKS1_21rocsparse_index_base_
    .private_segment_fixed_size: 0
    .sgpr_count:     24
    .sgpr_spill_count: 0
    .symbol:         _ZN9rocsparseL23sddmm_ell_sample_kernelILi16ELi64EfifEEvT2_S1_PKT3_lS1_PS2_PKS1_21rocsparse_index_base_.kd
    .uniform_work_group_size: 1
    .uses_dynamic_stack: false
    .vgpr_count:     12
    .vgpr_spill_count: 0
    .wavefront_size: 64
  - .args:
      - .offset:         0
        .size:           4
        .value_kind:     by_value
      - .offset:         4
        .size:           4
        .value_kind:     by_value
      - .offset:         8
        .size:           4
        .value_kind:     by_value
      - .offset:         12
        .size:           4
        .value_kind:     by_value
      - .offset:         16
        .size:           4
        .value_kind:     by_value
      - .offset:         20
        .size:           4
        .value_kind:     by_value
      - .offset:         24
        .size:           4
        .value_kind:     by_value
      - .offset:         28
        .size:           4
        .value_kind:     by_value
      - .offset:         32
        .size:           8
        .value_kind:     by_value
      - .actual_access:  read_only
        .address_space:  global
        .offset:         40
        .size:           8
        .value_kind:     global_buffer
      - .offset:         48
        .size:           8
        .value_kind:     by_value
      - .actual_access:  read_only
        .address_space:  global
        .offset:         56
        .size:           8
        .value_kind:     global_buffer
      - .offset:         64
        .size:           8
        .value_kind:     by_value
      - .offset:         72
        .size:           8
        .value_kind:     by_value
      - .address_space:  global
        .offset:         80
        .size:           8
        .value_kind:     global_buffer
      - .actual_access:  read_only
        .address_space:  global
        .offset:         88
        .size:           8
        .value_kind:     global_buffer
      - .offset:         96
        .size:           4
        .value_kind:     by_value
      - .offset:         100
        .size:           1
        .value_kind:     by_value
    .group_segment_fixed_size: 2048
    .kernarg_segment_align: 8
    .kernarg_segment_size: 104
    .language:       OpenCL C
    .language_version:
      - 2
      - 0
    .max_flat_workgroup_size: 512
    .name:           _ZN9rocsparseL16sddmm_ell_kernelILi512ELi8EfiifffEEv20rocsparse_operation_S1_16rocsparse_order_S2_T3_S3_S3_T2_NS_24const_host_device_scalarIT1_EEPKT4_lPKT5_lS7_PT6_PKS3_21rocsparse_index_base_b
    .private_segment_fixed_size: 0
    .sgpr_count:     30
    .sgpr_spill_count: 0
    .symbol:         _ZN9rocsparseL16sddmm_ell_kernelILi512ELi8EfiifffEEv20rocsparse_operation_S1_16rocsparse_order_S2_T3_S3_S3_T2_NS_24const_host_device_scalarIT1_EEPKT4_lPKT5_lS7_PT6_PKS3_21rocsparse_index_base_b.kd
    .uniform_work_group_size: 1
    .uses_dynamic_stack: false
    .vgpr_count:     15
    .vgpr_spill_count: 0
    .wavefront_size: 64
  - .args:
      - .offset:         0
        .size:           4
        .value_kind:     by_value
      - .offset:         4
        .size:           4
        .value_kind:     by_value
      - .offset:         8
        .size:           4
        .value_kind:     by_value
      - .offset:         12
        .size:           4
        .value_kind:     by_value
      - .offset:         16
        .size:           4
        .value_kind:     by_value
      - .offset:         20
        .size:           4
        .value_kind:     by_value
      - .offset:         24
        .size:           4
        .value_kind:     by_value
      - .offset:         28
        .size:           4
        .value_kind:     by_value
      - .offset:         32
        .size:           8
        .value_kind:     by_value
      - .actual_access:  read_only
        .address_space:  global
        .offset:         40
        .size:           8
        .value_kind:     global_buffer
      - .offset:         48
        .size:           8
        .value_kind:     by_value
      - .actual_access:  read_only
        .address_space:  global
        .offset:         56
        .size:           8
        .value_kind:     global_buffer
      - .offset:         64
        .size:           8
        .value_kind:     by_value
      - .offset:         72
        .size:           8
        .value_kind:     by_value
      - .address_space:  global
        .offset:         80
        .size:           8
        .value_kind:     global_buffer
      - .actual_access:  read_only
        .address_space:  global
        .offset:         88
        .size:           8
        .value_kind:     global_buffer
      - .offset:         96
        .size:           4
        .value_kind:     by_value
      - .offset:         100
        .size:           1
        .value_kind:     by_value
    .group_segment_fixed_size: 2048
    .kernarg_segment_align: 8
    .kernarg_segment_size: 104
    .language:       OpenCL C
    .language_version:
      - 2
      - 0
    .max_flat_workgroup_size: 512
    .name:           _ZN9rocsparseL16sddmm_ell_kernelILi512ELi4EfiifffEEv20rocsparse_operation_S1_16rocsparse_order_S2_T3_S3_S3_T2_NS_24const_host_device_scalarIT1_EEPKT4_lPKT5_lS7_PT6_PKS3_21rocsparse_index_base_b
    .private_segment_fixed_size: 0
    .sgpr_count:     30
    .sgpr_spill_count: 0
    .symbol:         _ZN9rocsparseL16sddmm_ell_kernelILi512ELi4EfiifffEEv20rocsparse_operation_S1_16rocsparse_order_S2_T3_S3_S3_T2_NS_24const_host_device_scalarIT1_EEPKT4_lPKT5_lS7_PT6_PKS3_21rocsparse_index_base_b.kd
    .uniform_work_group_size: 1
    .uses_dynamic_stack: false
    .vgpr_count:     15
    .vgpr_spill_count: 0
    .wavefront_size: 64
  - .args:
      - .offset:         0
        .size:           4
        .value_kind:     by_value
      - .offset:         4
        .size:           4
        .value_kind:     by_value
      - .offset:         8
        .size:           4
        .value_kind:     by_value
      - .offset:         12
        .size:           4
        .value_kind:     by_value
      - .offset:         16
        .size:           4
        .value_kind:     by_value
      - .offset:         20
        .size:           4
        .value_kind:     by_value
      - .offset:         24
        .size:           4
        .value_kind:     by_value
      - .offset:         28
        .size:           4
        .value_kind:     by_value
      - .offset:         32
        .size:           8
        .value_kind:     by_value
      - .actual_access:  read_only
        .address_space:  global
        .offset:         40
        .size:           8
        .value_kind:     global_buffer
      - .offset:         48
        .size:           8
        .value_kind:     by_value
      - .actual_access:  read_only
        .address_space:  global
        .offset:         56
        .size:           8
        .value_kind:     global_buffer
      - .offset:         64
        .size:           8
        .value_kind:     by_value
      - .offset:         72
        .size:           8
        .value_kind:     by_value
      - .address_space:  global
        .offset:         80
        .size:           8
        .value_kind:     global_buffer
      - .actual_access:  read_only
        .address_space:  global
        .offset:         88
        .size:           8
        .value_kind:     global_buffer
      - .offset:         96
        .size:           4
        .value_kind:     by_value
      - .offset:         100
        .size:           1
        .value_kind:     by_value
    .group_segment_fixed_size: 2048
    .kernarg_segment_align: 8
    .kernarg_segment_size: 104
    .language:       OpenCL C
    .language_version:
      - 2
      - 0
    .max_flat_workgroup_size: 512
    .name:           _ZN9rocsparseL16sddmm_ell_kernelILi512ELi2EfiifffEEv20rocsparse_operation_S1_16rocsparse_order_S2_T3_S3_S3_T2_NS_24const_host_device_scalarIT1_EEPKT4_lPKT5_lS7_PT6_PKS3_21rocsparse_index_base_b
    .private_segment_fixed_size: 0
    .sgpr_count:     32
    .sgpr_spill_count: 0
    .symbol:         _ZN9rocsparseL16sddmm_ell_kernelILi512ELi2EfiifffEEv20rocsparse_operation_S1_16rocsparse_order_S2_T3_S3_S3_T2_NS_24const_host_device_scalarIT1_EEPKT4_lPKT5_lS7_PT6_PKS3_21rocsparse_index_base_b.kd
    .uniform_work_group_size: 1
    .uses_dynamic_stack: false
    .vgpr_count:     14
    .vgpr_spill_count: 0
    .wavefront_size: 64
  - .args:
      - .offset:         0
        .size:           4
        .value_kind:     by_value
      - .offset:         4
        .size:           4
        .value_kind:     by_value
      - .offset:         8
        .size:           4
        .value_kind:     by_value
      - .offset:         12
        .size:           4
        .value_kind:     by_value
      - .offset:         16
        .size:           4
        .value_kind:     by_value
      - .offset:         20
        .size:           4
        .value_kind:     by_value
      - .offset:         24
        .size:           4
        .value_kind:     by_value
      - .offset:         28
        .size:           4
        .value_kind:     by_value
      - .offset:         32
        .size:           8
        .value_kind:     by_value
      - .actual_access:  read_only
        .address_space:  global
        .offset:         40
        .size:           8
        .value_kind:     global_buffer
      - .offset:         48
        .size:           8
        .value_kind:     by_value
      - .actual_access:  read_only
        .address_space:  global
        .offset:         56
        .size:           8
        .value_kind:     global_buffer
      - .offset:         64
        .size:           8
        .value_kind:     by_value
      - .offset:         72
        .size:           8
        .value_kind:     by_value
      - .address_space:  global
        .offset:         80
        .size:           8
        .value_kind:     global_buffer
      - .actual_access:  read_only
        .address_space:  global
        .offset:         88
        .size:           8
        .value_kind:     global_buffer
      - .offset:         96
        .size:           4
        .value_kind:     by_value
      - .offset:         100
        .size:           1
        .value_kind:     by_value
    .group_segment_fixed_size: 2048
    .kernarg_segment_align: 8
    .kernarg_segment_size: 104
    .language:       OpenCL C
    .language_version:
      - 2
      - 0
    .max_flat_workgroup_size: 512
    .name:           _ZN9rocsparseL16sddmm_ell_kernelILi512ELi1EfiifffEEv20rocsparse_operation_S1_16rocsparse_order_S2_T3_S3_S3_T2_NS_24const_host_device_scalarIT1_EEPKT4_lPKT5_lS7_PT6_PKS3_21rocsparse_index_base_b
    .private_segment_fixed_size: 0
    .sgpr_count:     30
    .sgpr_spill_count: 0
    .symbol:         _ZN9rocsparseL16sddmm_ell_kernelILi512ELi1EfiifffEEv20rocsparse_operation_S1_16rocsparse_order_S2_T3_S3_S3_T2_NS_24const_host_device_scalarIT1_EEPKT4_lPKT5_lS7_PT6_PKS3_21rocsparse_index_base_b.kd
    .uniform_work_group_size: 1
    .uses_dynamic_stack: false
    .vgpr_count:     12
    .vgpr_spill_count: 0
    .wavefront_size: 64
  - .args:
      - .offset:         0
        .size:           4
        .value_kind:     by_value
      - .offset:         4
        .size:           4
        .value_kind:     by_value
      - .actual_access:  read_only
        .address_space:  global
        .offset:         8
        .size:           8
        .value_kind:     global_buffer
      - .offset:         16
        .size:           8
        .value_kind:     by_value
      - .offset:         24
        .size:           4
        .value_kind:     by_value
      - .actual_access:  write_only
        .address_space:  global
        .offset:         32
        .size:           8
        .value_kind:     global_buffer
      - .actual_access:  read_only
        .address_space:  global
        .offset:         40
        .size:           8
        .value_kind:     global_buffer
      - .offset:         48
        .size:           4
        .value_kind:     by_value
    .group_segment_fixed_size: 0
    .kernarg_segment_align: 8
    .kernarg_segment_size: 52
    .language:       OpenCL C
    .language_version:
      - 2
      - 0
    .max_flat_workgroup_size: 512
    .name:           _ZN9rocsparseL23sddmm_ell_sample_kernelILi16ELi32EdidEEvT2_S1_PKT3_lS1_PS2_PKS1_21rocsparse_index_base_
    .private_segment_fixed_size: 0
    .sgpr_count:     24
    .sgpr_spill_count: 0
    .symbol:         _ZN9rocsparseL23sddmm_ell_sample_kernelILi16ELi32EdidEEvT2_S1_PKT3_lS1_PS2_PKS1_21rocsparse_index_base_.kd
    .uniform_work_group_size: 1
    .uses_dynamic_stack: false
    .vgpr_count:     11
    .vgpr_spill_count: 0
    .wavefront_size: 64
  - .args:
      - .offset:         0
        .size:           4
        .value_kind:     by_value
      - .offset:         4
        .size:           4
        .value_kind:     by_value
      - .actual_access:  read_only
        .address_space:  global
        .offset:         8
        .size:           8
        .value_kind:     global_buffer
      - .offset:         16
        .size:           8
        .value_kind:     by_value
      - .offset:         24
        .size:           4
        .value_kind:     by_value
      - .actual_access:  write_only
        .address_space:  global
        .offset:         32
        .size:           8
        .value_kind:     global_buffer
      - .actual_access:  read_only
        .address_space:  global
        .offset:         40
        .size:           8
        .value_kind:     global_buffer
      - .offset:         48
        .size:           4
        .value_kind:     by_value
    .group_segment_fixed_size: 0
    .kernarg_segment_align: 8
    .kernarg_segment_size: 52
    .language:       OpenCL C
    .language_version:
      - 2
      - 0
    .max_flat_workgroup_size: 1024
    .name:           _ZN9rocsparseL23sddmm_ell_sample_kernelILi16ELi64EdidEEvT2_S1_PKT3_lS1_PS2_PKS1_21rocsparse_index_base_
    .private_segment_fixed_size: 0
    .sgpr_count:     24
    .sgpr_spill_count: 0
    .symbol:         _ZN9rocsparseL23sddmm_ell_sample_kernelILi16ELi64EdidEEvT2_S1_PKT3_lS1_PS2_PKS1_21rocsparse_index_base_.kd
    .uniform_work_group_size: 1
    .uses_dynamic_stack: false
    .vgpr_count:     11
    .vgpr_spill_count: 0
    .wavefront_size: 64
  - .args:
      - .offset:         0
        .size:           4
        .value_kind:     by_value
      - .offset:         4
        .size:           4
        .value_kind:     by_value
      - .offset:         8
        .size:           4
        .value_kind:     by_value
      - .offset:         12
        .size:           4
        .value_kind:     by_value
      - .offset:         16
        .size:           4
        .value_kind:     by_value
      - .offset:         20
        .size:           4
        .value_kind:     by_value
      - .offset:         24
        .size:           4
        .value_kind:     by_value
      - .offset:         28
        .size:           4
        .value_kind:     by_value
      - .offset:         32
        .size:           8
        .value_kind:     by_value
      - .actual_access:  read_only
        .address_space:  global
        .offset:         40
        .size:           8
        .value_kind:     global_buffer
      - .offset:         48
        .size:           8
        .value_kind:     by_value
      - .actual_access:  read_only
        .address_space:  global
        .offset:         56
        .size:           8
        .value_kind:     global_buffer
      - .offset:         64
        .size:           8
        .value_kind:     by_value
      - .offset:         72
        .size:           8
        .value_kind:     by_value
      - .address_space:  global
        .offset:         80
        .size:           8
        .value_kind:     global_buffer
      - .actual_access:  read_only
        .address_space:  global
        .offset:         88
        .size:           8
        .value_kind:     global_buffer
      - .offset:         96
        .size:           4
        .value_kind:     by_value
      - .offset:         100
        .size:           1
        .value_kind:     by_value
    .group_segment_fixed_size: 4096
    .kernarg_segment_align: 8
    .kernarg_segment_size: 104
    .language:       OpenCL C
    .language_version:
      - 2
      - 0
    .max_flat_workgroup_size: 512
    .name:           _ZN9rocsparseL16sddmm_ell_kernelILi512ELi8EdiidddEEv20rocsparse_operation_S1_16rocsparse_order_S2_T3_S3_S3_T2_NS_24const_host_device_scalarIT1_EEPKT4_lPKT5_lS7_PT6_PKS3_21rocsparse_index_base_b
    .private_segment_fixed_size: 0
    .sgpr_count:     26
    .sgpr_spill_count: 0
    .symbol:         _ZN9rocsparseL16sddmm_ell_kernelILi512ELi8EdiidddEEv20rocsparse_operation_S1_16rocsparse_order_S2_T3_S3_S3_T2_NS_24const_host_device_scalarIT1_EEPKT4_lPKT5_lS7_PT6_PKS3_21rocsparse_index_base_b.kd
    .uniform_work_group_size: 1
    .uses_dynamic_stack: false
    .vgpr_count:     21
    .vgpr_spill_count: 0
    .wavefront_size: 64
  - .args:
      - .offset:         0
        .size:           4
        .value_kind:     by_value
      - .offset:         4
        .size:           4
        .value_kind:     by_value
      - .offset:         8
        .size:           4
        .value_kind:     by_value
      - .offset:         12
        .size:           4
        .value_kind:     by_value
      - .offset:         16
        .size:           4
        .value_kind:     by_value
      - .offset:         20
        .size:           4
        .value_kind:     by_value
      - .offset:         24
        .size:           4
        .value_kind:     by_value
      - .offset:         28
        .size:           4
        .value_kind:     by_value
      - .offset:         32
        .size:           8
        .value_kind:     by_value
      - .actual_access:  read_only
        .address_space:  global
        .offset:         40
        .size:           8
        .value_kind:     global_buffer
      - .offset:         48
        .size:           8
        .value_kind:     by_value
      - .actual_access:  read_only
        .address_space:  global
        .offset:         56
        .size:           8
        .value_kind:     global_buffer
      - .offset:         64
        .size:           8
        .value_kind:     by_value
      - .offset:         72
        .size:           8
        .value_kind:     by_value
      - .address_space:  global
        .offset:         80
        .size:           8
        .value_kind:     global_buffer
      - .actual_access:  read_only
        .address_space:  global
        .offset:         88
        .size:           8
        .value_kind:     global_buffer
      - .offset:         96
        .size:           4
        .value_kind:     by_value
      - .offset:         100
        .size:           1
        .value_kind:     by_value
    .group_segment_fixed_size: 4096
    .kernarg_segment_align: 8
    .kernarg_segment_size: 104
    .language:       OpenCL C
    .language_version:
      - 2
      - 0
    .max_flat_workgroup_size: 512
    .name:           _ZN9rocsparseL16sddmm_ell_kernelILi512ELi4EdiidddEEv20rocsparse_operation_S1_16rocsparse_order_S2_T3_S3_S3_T2_NS_24const_host_device_scalarIT1_EEPKT4_lPKT5_lS7_PT6_PKS3_21rocsparse_index_base_b
    .private_segment_fixed_size: 0
    .sgpr_count:     26
    .sgpr_spill_count: 0
    .symbol:         _ZN9rocsparseL16sddmm_ell_kernelILi512ELi4EdiidddEEv20rocsparse_operation_S1_16rocsparse_order_S2_T3_S3_S3_T2_NS_24const_host_device_scalarIT1_EEPKT4_lPKT5_lS7_PT6_PKS3_21rocsparse_index_base_b.kd
    .uniform_work_group_size: 1
    .uses_dynamic_stack: false
    .vgpr_count:     21
    .vgpr_spill_count: 0
    .wavefront_size: 64
  - .args:
      - .offset:         0
        .size:           4
        .value_kind:     by_value
      - .offset:         4
        .size:           4
        .value_kind:     by_value
      - .offset:         8
        .size:           4
        .value_kind:     by_value
      - .offset:         12
        .size:           4
        .value_kind:     by_value
      - .offset:         16
        .size:           4
        .value_kind:     by_value
      - .offset:         20
        .size:           4
        .value_kind:     by_value
      - .offset:         24
        .size:           4
        .value_kind:     by_value
      - .offset:         28
        .size:           4
        .value_kind:     by_value
      - .offset:         32
        .size:           8
        .value_kind:     by_value
      - .actual_access:  read_only
        .address_space:  global
        .offset:         40
        .size:           8
        .value_kind:     global_buffer
      - .offset:         48
        .size:           8
        .value_kind:     by_value
      - .actual_access:  read_only
        .address_space:  global
        .offset:         56
        .size:           8
        .value_kind:     global_buffer
      - .offset:         64
        .size:           8
        .value_kind:     by_value
      - .offset:         72
        .size:           8
        .value_kind:     by_value
      - .address_space:  global
        .offset:         80
        .size:           8
        .value_kind:     global_buffer
      - .actual_access:  read_only
        .address_space:  global
        .offset:         88
        .size:           8
        .value_kind:     global_buffer
      - .offset:         96
        .size:           4
        .value_kind:     by_value
      - .offset:         100
        .size:           1
        .value_kind:     by_value
    .group_segment_fixed_size: 4096
    .kernarg_segment_align: 8
    .kernarg_segment_size: 104
    .language:       OpenCL C
    .language_version:
      - 2
      - 0
    .max_flat_workgroup_size: 512
    .name:           _ZN9rocsparseL16sddmm_ell_kernelILi512ELi2EdiidddEEv20rocsparse_operation_S1_16rocsparse_order_S2_T3_S3_S3_T2_NS_24const_host_device_scalarIT1_EEPKT4_lPKT5_lS7_PT6_PKS3_21rocsparse_index_base_b
    .private_segment_fixed_size: 0
    .sgpr_count:     28
    .sgpr_spill_count: 0
    .symbol:         _ZN9rocsparseL16sddmm_ell_kernelILi512ELi2EdiidddEEv20rocsparse_operation_S1_16rocsparse_order_S2_T3_S3_S3_T2_NS_24const_host_device_scalarIT1_EEPKT4_lPKT5_lS7_PT6_PKS3_21rocsparse_index_base_b.kd
    .uniform_work_group_size: 1
    .uses_dynamic_stack: false
    .vgpr_count:     21
    .vgpr_spill_count: 0
    .wavefront_size: 64
  - .args:
      - .offset:         0
        .size:           4
        .value_kind:     by_value
      - .offset:         4
        .size:           4
        .value_kind:     by_value
      - .offset:         8
        .size:           4
        .value_kind:     by_value
      - .offset:         12
        .size:           4
        .value_kind:     by_value
      - .offset:         16
        .size:           4
        .value_kind:     by_value
      - .offset:         20
        .size:           4
        .value_kind:     by_value
      - .offset:         24
        .size:           4
        .value_kind:     by_value
      - .offset:         28
        .size:           4
        .value_kind:     by_value
      - .offset:         32
        .size:           8
        .value_kind:     by_value
      - .actual_access:  read_only
        .address_space:  global
        .offset:         40
        .size:           8
        .value_kind:     global_buffer
      - .offset:         48
        .size:           8
        .value_kind:     by_value
      - .actual_access:  read_only
        .address_space:  global
        .offset:         56
        .size:           8
        .value_kind:     global_buffer
      - .offset:         64
        .size:           8
        .value_kind:     by_value
      - .offset:         72
        .size:           8
        .value_kind:     by_value
      - .address_space:  global
        .offset:         80
        .size:           8
        .value_kind:     global_buffer
      - .actual_access:  read_only
        .address_space:  global
        .offset:         88
        .size:           8
        .value_kind:     global_buffer
      - .offset:         96
        .size:           4
        .value_kind:     by_value
      - .offset:         100
        .size:           1
        .value_kind:     by_value
    .group_segment_fixed_size: 4096
    .kernarg_segment_align: 8
    .kernarg_segment_size: 104
    .language:       OpenCL C
    .language_version:
      - 2
      - 0
    .max_flat_workgroup_size: 512
    .name:           _ZN9rocsparseL16sddmm_ell_kernelILi512ELi1EdiidddEEv20rocsparse_operation_S1_16rocsparse_order_S2_T3_S3_S3_T2_NS_24const_host_device_scalarIT1_EEPKT4_lPKT5_lS7_PT6_PKS3_21rocsparse_index_base_b
    .private_segment_fixed_size: 0
    .sgpr_count:     26
    .sgpr_spill_count: 0
    .symbol:         _ZN9rocsparseL16sddmm_ell_kernelILi512ELi1EdiidddEEv20rocsparse_operation_S1_16rocsparse_order_S2_T3_S3_S3_T2_NS_24const_host_device_scalarIT1_EEPKT4_lPKT5_lS7_PT6_PKS3_21rocsparse_index_base_b.kd
    .uniform_work_group_size: 1
    .uses_dynamic_stack: false
    .vgpr_count:     19
    .vgpr_spill_count: 0
    .wavefront_size: 64
  - .args:
      - .offset:         0
        .size:           4
        .value_kind:     by_value
      - .offset:         4
        .size:           4
        .value_kind:     by_value
      - .actual_access:  read_only
        .address_space:  global
        .offset:         8
        .size:           8
        .value_kind:     global_buffer
      - .offset:         16
        .size:           8
        .value_kind:     by_value
      - .offset:         24
        .size:           4
        .value_kind:     by_value
      - .actual_access:  write_only
        .address_space:  global
        .offset:         32
        .size:           8
        .value_kind:     global_buffer
      - .actual_access:  read_only
        .address_space:  global
        .offset:         40
        .size:           8
        .value_kind:     global_buffer
      - .offset:         48
        .size:           4
        .value_kind:     by_value
    .group_segment_fixed_size: 0
    .kernarg_segment_align: 8
    .kernarg_segment_size: 52
    .language:       OpenCL C
    .language_version:
      - 2
      - 0
    .max_flat_workgroup_size: 512
    .name:           _ZN9rocsparseL23sddmm_ell_sample_kernelILi16ELi32E21rocsparse_complex_numIfEiS2_EEvT2_S3_PKT3_lS3_PS4_PKS3_21rocsparse_index_base_
    .private_segment_fixed_size: 0
    .sgpr_count:     24
    .sgpr_spill_count: 0
    .symbol:         _ZN9rocsparseL23sddmm_ell_sample_kernelILi16ELi32E21rocsparse_complex_numIfEiS2_EEvT2_S3_PKT3_lS3_PS4_PKS3_21rocsparse_index_base_.kd
    .uniform_work_group_size: 1
    .uses_dynamic_stack: false
    .vgpr_count:     11
    .vgpr_spill_count: 0
    .wavefront_size: 64
  - .args:
      - .offset:         0
        .size:           4
        .value_kind:     by_value
      - .offset:         4
        .size:           4
        .value_kind:     by_value
      - .actual_access:  read_only
        .address_space:  global
        .offset:         8
        .size:           8
        .value_kind:     global_buffer
      - .offset:         16
        .size:           8
        .value_kind:     by_value
      - .offset:         24
        .size:           4
        .value_kind:     by_value
      - .actual_access:  write_only
        .address_space:  global
        .offset:         32
        .size:           8
        .value_kind:     global_buffer
      - .actual_access:  read_only
        .address_space:  global
        .offset:         40
        .size:           8
        .value_kind:     global_buffer
      - .offset:         48
        .size:           4
        .value_kind:     by_value
    .group_segment_fixed_size: 0
    .kernarg_segment_align: 8
    .kernarg_segment_size: 52
    .language:       OpenCL C
    .language_version:
      - 2
      - 0
    .max_flat_workgroup_size: 1024
    .name:           _ZN9rocsparseL23sddmm_ell_sample_kernelILi16ELi64E21rocsparse_complex_numIfEiS2_EEvT2_S3_PKT3_lS3_PS4_PKS3_21rocsparse_index_base_
    .private_segment_fixed_size: 0
    .sgpr_count:     24
    .sgpr_spill_count: 0
    .symbol:         _ZN9rocsparseL23sddmm_ell_sample_kernelILi16ELi64E21rocsparse_complex_numIfEiS2_EEvT2_S3_PKT3_lS3_PS4_PKS3_21rocsparse_index_base_.kd
    .uniform_work_group_size: 1
    .uses_dynamic_stack: false
    .vgpr_count:     11
    .vgpr_spill_count: 0
    .wavefront_size: 64
  - .args:
      - .offset:         0
        .size:           4
        .value_kind:     by_value
      - .offset:         4
        .size:           4
        .value_kind:     by_value
      - .offset:         8
        .size:           4
        .value_kind:     by_value
      - .offset:         12
        .size:           4
        .value_kind:     by_value
      - .offset:         16
        .size:           4
        .value_kind:     by_value
      - .offset:         20
        .size:           4
        .value_kind:     by_value
      - .offset:         24
        .size:           4
        .value_kind:     by_value
      - .offset:         28
        .size:           4
        .value_kind:     by_value
      - .offset:         32
        .size:           8
        .value_kind:     by_value
      - .actual_access:  read_only
        .address_space:  global
        .offset:         40
        .size:           8
        .value_kind:     global_buffer
      - .offset:         48
        .size:           8
        .value_kind:     by_value
      - .actual_access:  read_only
        .address_space:  global
        .offset:         56
        .size:           8
        .value_kind:     global_buffer
      - .offset:         64
        .size:           8
        .value_kind:     by_value
      - .offset:         72
        .size:           8
        .value_kind:     by_value
      - .address_space:  global
        .offset:         80
        .size:           8
        .value_kind:     global_buffer
      - .actual_access:  read_only
        .address_space:  global
        .offset:         88
        .size:           8
        .value_kind:     global_buffer
      - .offset:         96
        .size:           4
        .value_kind:     by_value
      - .offset:         100
        .size:           1
        .value_kind:     by_value
    .group_segment_fixed_size: 4096
    .kernarg_segment_align: 8
    .kernarg_segment_size: 104
    .language:       OpenCL C
    .language_version:
      - 2
      - 0
    .max_flat_workgroup_size: 512
    .name:           _ZN9rocsparseL16sddmm_ell_kernelILi512ELi8E21rocsparse_complex_numIfEiiS2_S2_S2_EEv20rocsparse_operation_S3_16rocsparse_order_S4_T3_S5_S5_T2_NS_24const_host_device_scalarIT1_EEPKT4_lPKT5_lS9_PT6_PKS5_21rocsparse_index_base_b
    .private_segment_fixed_size: 0
    .sgpr_count:     26
    .sgpr_spill_count: 0
    .symbol:         _ZN9rocsparseL16sddmm_ell_kernelILi512ELi8E21rocsparse_complex_numIfEiiS2_S2_S2_EEv20rocsparse_operation_S3_16rocsparse_order_S4_T3_S5_S5_T2_NS_24const_host_device_scalarIT1_EEPKT4_lPKT5_lS9_PT6_PKS5_21rocsparse_index_base_b.kd
    .uniform_work_group_size: 1
    .uses_dynamic_stack: false
    .vgpr_count:     22
    .vgpr_spill_count: 0
    .wavefront_size: 64
  - .args:
      - .offset:         0
        .size:           4
        .value_kind:     by_value
      - .offset:         4
        .size:           4
        .value_kind:     by_value
      - .offset:         8
        .size:           4
        .value_kind:     by_value
      - .offset:         12
        .size:           4
        .value_kind:     by_value
      - .offset:         16
        .size:           4
        .value_kind:     by_value
      - .offset:         20
        .size:           4
        .value_kind:     by_value
      - .offset:         24
        .size:           4
        .value_kind:     by_value
      - .offset:         28
        .size:           4
        .value_kind:     by_value
      - .offset:         32
        .size:           8
        .value_kind:     by_value
      - .actual_access:  read_only
        .address_space:  global
        .offset:         40
        .size:           8
        .value_kind:     global_buffer
      - .offset:         48
        .size:           8
        .value_kind:     by_value
      - .actual_access:  read_only
        .address_space:  global
        .offset:         56
        .size:           8
        .value_kind:     global_buffer
      - .offset:         64
        .size:           8
        .value_kind:     by_value
      - .offset:         72
        .size:           8
        .value_kind:     by_value
      - .address_space:  global
        .offset:         80
        .size:           8
        .value_kind:     global_buffer
      - .actual_access:  read_only
        .address_space:  global
        .offset:         88
        .size:           8
        .value_kind:     global_buffer
      - .offset:         96
        .size:           4
        .value_kind:     by_value
      - .offset:         100
        .size:           1
        .value_kind:     by_value
    .group_segment_fixed_size: 4096
    .kernarg_segment_align: 8
    .kernarg_segment_size: 104
    .language:       OpenCL C
    .language_version:
      - 2
      - 0
    .max_flat_workgroup_size: 512
    .name:           _ZN9rocsparseL16sddmm_ell_kernelILi512ELi4E21rocsparse_complex_numIfEiiS2_S2_S2_EEv20rocsparse_operation_S3_16rocsparse_order_S4_T3_S5_S5_T2_NS_24const_host_device_scalarIT1_EEPKT4_lPKT5_lS9_PT6_PKS5_21rocsparse_index_base_b
    .private_segment_fixed_size: 0
    .sgpr_count:     26
    .sgpr_spill_count: 0
    .symbol:         _ZN9rocsparseL16sddmm_ell_kernelILi512ELi4E21rocsparse_complex_numIfEiiS2_S2_S2_EEv20rocsparse_operation_S3_16rocsparse_order_S4_T3_S5_S5_T2_NS_24const_host_device_scalarIT1_EEPKT4_lPKT5_lS9_PT6_PKS5_21rocsparse_index_base_b.kd
    .uniform_work_group_size: 1
    .uses_dynamic_stack: false
    .vgpr_count:     22
    .vgpr_spill_count: 0
    .wavefront_size: 64
  - .args:
      - .offset:         0
        .size:           4
        .value_kind:     by_value
      - .offset:         4
        .size:           4
        .value_kind:     by_value
      - .offset:         8
        .size:           4
        .value_kind:     by_value
      - .offset:         12
        .size:           4
        .value_kind:     by_value
      - .offset:         16
        .size:           4
        .value_kind:     by_value
      - .offset:         20
        .size:           4
        .value_kind:     by_value
      - .offset:         24
        .size:           4
        .value_kind:     by_value
      - .offset:         28
        .size:           4
        .value_kind:     by_value
      - .offset:         32
        .size:           8
        .value_kind:     by_value
      - .actual_access:  read_only
        .address_space:  global
        .offset:         40
        .size:           8
        .value_kind:     global_buffer
      - .offset:         48
        .size:           8
        .value_kind:     by_value
      - .actual_access:  read_only
        .address_space:  global
        .offset:         56
        .size:           8
        .value_kind:     global_buffer
      - .offset:         64
        .size:           8
        .value_kind:     by_value
      - .offset:         72
        .size:           8
        .value_kind:     by_value
      - .address_space:  global
        .offset:         80
        .size:           8
        .value_kind:     global_buffer
      - .actual_access:  read_only
        .address_space:  global
        .offset:         88
        .size:           8
        .value_kind:     global_buffer
      - .offset:         96
        .size:           4
        .value_kind:     by_value
      - .offset:         100
        .size:           1
        .value_kind:     by_value
    .group_segment_fixed_size: 4096
    .kernarg_segment_align: 8
    .kernarg_segment_size: 104
    .language:       OpenCL C
    .language_version:
      - 2
      - 0
    .max_flat_workgroup_size: 512
    .name:           _ZN9rocsparseL16sddmm_ell_kernelILi512ELi2E21rocsparse_complex_numIfEiiS2_S2_S2_EEv20rocsparse_operation_S3_16rocsparse_order_S4_T3_S5_S5_T2_NS_24const_host_device_scalarIT1_EEPKT4_lPKT5_lS9_PT6_PKS5_21rocsparse_index_base_b
    .private_segment_fixed_size: 0
    .sgpr_count:     28
    .sgpr_spill_count: 0
    .symbol:         _ZN9rocsparseL16sddmm_ell_kernelILi512ELi2E21rocsparse_complex_numIfEiiS2_S2_S2_EEv20rocsparse_operation_S3_16rocsparse_order_S4_T3_S5_S5_T2_NS_24const_host_device_scalarIT1_EEPKT4_lPKT5_lS9_PT6_PKS5_21rocsparse_index_base_b.kd
    .uniform_work_group_size: 1
    .uses_dynamic_stack: false
    .vgpr_count:     22
    .vgpr_spill_count: 0
    .wavefront_size: 64
  - .args:
      - .offset:         0
        .size:           4
        .value_kind:     by_value
      - .offset:         4
        .size:           4
        .value_kind:     by_value
      - .offset:         8
        .size:           4
        .value_kind:     by_value
      - .offset:         12
        .size:           4
        .value_kind:     by_value
      - .offset:         16
        .size:           4
        .value_kind:     by_value
      - .offset:         20
        .size:           4
        .value_kind:     by_value
      - .offset:         24
        .size:           4
        .value_kind:     by_value
      - .offset:         28
        .size:           4
        .value_kind:     by_value
      - .offset:         32
        .size:           8
        .value_kind:     by_value
      - .actual_access:  read_only
        .address_space:  global
        .offset:         40
        .size:           8
        .value_kind:     global_buffer
      - .offset:         48
        .size:           8
        .value_kind:     by_value
      - .actual_access:  read_only
        .address_space:  global
        .offset:         56
        .size:           8
        .value_kind:     global_buffer
      - .offset:         64
        .size:           8
        .value_kind:     by_value
      - .offset:         72
        .size:           8
        .value_kind:     by_value
      - .address_space:  global
        .offset:         80
        .size:           8
        .value_kind:     global_buffer
      - .actual_access:  read_only
        .address_space:  global
        .offset:         88
        .size:           8
        .value_kind:     global_buffer
      - .offset:         96
        .size:           4
        .value_kind:     by_value
      - .offset:         100
        .size:           1
        .value_kind:     by_value
    .group_segment_fixed_size: 4096
    .kernarg_segment_align: 8
    .kernarg_segment_size: 104
    .language:       OpenCL C
    .language_version:
      - 2
      - 0
    .max_flat_workgroup_size: 512
    .name:           _ZN9rocsparseL16sddmm_ell_kernelILi512ELi1E21rocsparse_complex_numIfEiiS2_S2_S2_EEv20rocsparse_operation_S3_16rocsparse_order_S4_T3_S5_S5_T2_NS_24const_host_device_scalarIT1_EEPKT4_lPKT5_lS9_PT6_PKS5_21rocsparse_index_base_b
    .private_segment_fixed_size: 0
    .sgpr_count:     26
    .sgpr_spill_count: 0
    .symbol:         _ZN9rocsparseL16sddmm_ell_kernelILi512ELi1E21rocsparse_complex_numIfEiiS2_S2_S2_EEv20rocsparse_operation_S3_16rocsparse_order_S4_T3_S5_S5_T2_NS_24const_host_device_scalarIT1_EEPKT4_lPKT5_lS9_PT6_PKS5_21rocsparse_index_base_b.kd
    .uniform_work_group_size: 1
    .uses_dynamic_stack: false
    .vgpr_count:     20
    .vgpr_spill_count: 0
    .wavefront_size: 64
  - .args:
      - .offset:         0
        .size:           4
        .value_kind:     by_value
      - .offset:         4
        .size:           4
        .value_kind:     by_value
      - .actual_access:  read_only
        .address_space:  global
        .offset:         8
        .size:           8
        .value_kind:     global_buffer
      - .offset:         16
        .size:           8
        .value_kind:     by_value
      - .offset:         24
        .size:           4
        .value_kind:     by_value
      - .actual_access:  write_only
        .address_space:  global
        .offset:         32
        .size:           8
        .value_kind:     global_buffer
      - .actual_access:  read_only
        .address_space:  global
        .offset:         40
        .size:           8
        .value_kind:     global_buffer
      - .offset:         48
        .size:           4
        .value_kind:     by_value
    .group_segment_fixed_size: 0
    .kernarg_segment_align: 8
    .kernarg_segment_size: 52
    .language:       OpenCL C
    .language_version:
      - 2
      - 0
    .max_flat_workgroup_size: 512
    .name:           _ZN9rocsparseL23sddmm_ell_sample_kernelILi16ELi32E21rocsparse_complex_numIdEiS2_EEvT2_S3_PKT3_lS3_PS4_PKS3_21rocsparse_index_base_
    .private_segment_fixed_size: 0
    .sgpr_count:     24
    .sgpr_spill_count: 0
    .symbol:         _ZN9rocsparseL23sddmm_ell_sample_kernelILi16ELi32E21rocsparse_complex_numIdEiS2_EEvT2_S3_PKT3_lS3_PS4_PKS3_21rocsparse_index_base_.kd
    .uniform_work_group_size: 1
    .uses_dynamic_stack: false
    .vgpr_count:     13
    .vgpr_spill_count: 0
    .wavefront_size: 64
  - .args:
      - .offset:         0
        .size:           4
        .value_kind:     by_value
      - .offset:         4
        .size:           4
        .value_kind:     by_value
      - .actual_access:  read_only
        .address_space:  global
        .offset:         8
        .size:           8
        .value_kind:     global_buffer
      - .offset:         16
        .size:           8
        .value_kind:     by_value
      - .offset:         24
        .size:           4
        .value_kind:     by_value
      - .actual_access:  write_only
        .address_space:  global
        .offset:         32
        .size:           8
        .value_kind:     global_buffer
      - .actual_access:  read_only
        .address_space:  global
        .offset:         40
        .size:           8
        .value_kind:     global_buffer
      - .offset:         48
        .size:           4
        .value_kind:     by_value
    .group_segment_fixed_size: 0
    .kernarg_segment_align: 8
    .kernarg_segment_size: 52
    .language:       OpenCL C
    .language_version:
      - 2
      - 0
    .max_flat_workgroup_size: 1024
    .name:           _ZN9rocsparseL23sddmm_ell_sample_kernelILi16ELi64E21rocsparse_complex_numIdEiS2_EEvT2_S3_PKT3_lS3_PS4_PKS3_21rocsparse_index_base_
    .private_segment_fixed_size: 0
    .sgpr_count:     24
    .sgpr_spill_count: 0
    .symbol:         _ZN9rocsparseL23sddmm_ell_sample_kernelILi16ELi64E21rocsparse_complex_numIdEiS2_EEvT2_S3_PKT3_lS3_PS4_PKS3_21rocsparse_index_base_.kd
    .uniform_work_group_size: 1
    .uses_dynamic_stack: false
    .vgpr_count:     13
    .vgpr_spill_count: 0
    .wavefront_size: 64
  - .args:
      - .offset:         0
        .size:           4
        .value_kind:     by_value
      - .offset:         4
        .size:           4
        .value_kind:     by_value
      - .offset:         8
        .size:           4
        .value_kind:     by_value
      - .offset:         12
        .size:           4
        .value_kind:     by_value
      - .offset:         16
        .size:           4
        .value_kind:     by_value
      - .offset:         20
        .size:           4
        .value_kind:     by_value
      - .offset:         24
        .size:           4
        .value_kind:     by_value
      - .offset:         28
        .size:           4
        .value_kind:     by_value
      - .offset:         32
        .size:           16
        .value_kind:     by_value
      - .actual_access:  read_only
        .address_space:  global
        .offset:         48
        .size:           8
        .value_kind:     global_buffer
      - .offset:         56
        .size:           8
        .value_kind:     by_value
      - .actual_access:  read_only
        .address_space:  global
        .offset:         64
        .size:           8
        .value_kind:     global_buffer
      - .offset:         72
        .size:           8
        .value_kind:     by_value
      - .offset:         80
        .size:           16
        .value_kind:     by_value
      - .address_space:  global
        .offset:         96
        .size:           8
        .value_kind:     global_buffer
      - .actual_access:  read_only
        .address_space:  global
        .offset:         104
        .size:           8
        .value_kind:     global_buffer
      - .offset:         112
        .size:           4
        .value_kind:     by_value
      - .offset:         116
        .size:           1
        .value_kind:     by_value
    .group_segment_fixed_size: 8192
    .kernarg_segment_align: 8
    .kernarg_segment_size: 120
    .language:       OpenCL C
    .language_version:
      - 2
      - 0
    .max_flat_workgroup_size: 512
    .name:           _ZN9rocsparseL16sddmm_ell_kernelILi512ELi8E21rocsparse_complex_numIdEiiS2_S2_S2_EEv20rocsparse_operation_S3_16rocsparse_order_S4_T3_S5_S5_T2_NS_24const_host_device_scalarIT1_EEPKT4_lPKT5_lS9_PT6_PKS5_21rocsparse_index_base_b
    .private_segment_fixed_size: 0
    .sgpr_count:     26
    .sgpr_spill_count: 0
    .symbol:         _ZN9rocsparseL16sddmm_ell_kernelILi512ELi8E21rocsparse_complex_numIdEiiS2_S2_S2_EEv20rocsparse_operation_S3_16rocsparse_order_S4_T3_S5_S5_T2_NS_24const_host_device_scalarIT1_EEPKT4_lPKT5_lS9_PT6_PKS5_21rocsparse_index_base_b.kd
    .uniform_work_group_size: 1
    .uses_dynamic_stack: false
    .vgpr_count:     33
    .vgpr_spill_count: 0
    .wavefront_size: 64
  - .args:
      - .offset:         0
        .size:           4
        .value_kind:     by_value
      - .offset:         4
        .size:           4
        .value_kind:     by_value
      - .offset:         8
        .size:           4
        .value_kind:     by_value
      - .offset:         12
        .size:           4
        .value_kind:     by_value
      - .offset:         16
        .size:           4
        .value_kind:     by_value
      - .offset:         20
        .size:           4
        .value_kind:     by_value
      - .offset:         24
        .size:           4
        .value_kind:     by_value
      - .offset:         28
        .size:           4
        .value_kind:     by_value
      - .offset:         32
        .size:           16
        .value_kind:     by_value
      - .actual_access:  read_only
        .address_space:  global
        .offset:         48
        .size:           8
        .value_kind:     global_buffer
      - .offset:         56
        .size:           8
        .value_kind:     by_value
      - .actual_access:  read_only
        .address_space:  global
        .offset:         64
        .size:           8
        .value_kind:     global_buffer
      - .offset:         72
        .size:           8
        .value_kind:     by_value
      - .offset:         80
        .size:           16
        .value_kind:     by_value
      - .address_space:  global
        .offset:         96
        .size:           8
        .value_kind:     global_buffer
      - .actual_access:  read_only
        .address_space:  global
        .offset:         104
        .size:           8
        .value_kind:     global_buffer
      - .offset:         112
        .size:           4
        .value_kind:     by_value
      - .offset:         116
        .size:           1
        .value_kind:     by_value
    .group_segment_fixed_size: 8192
    .kernarg_segment_align: 8
    .kernarg_segment_size: 120
    .language:       OpenCL C
    .language_version:
      - 2
      - 0
    .max_flat_workgroup_size: 512
    .name:           _ZN9rocsparseL16sddmm_ell_kernelILi512ELi4E21rocsparse_complex_numIdEiiS2_S2_S2_EEv20rocsparse_operation_S3_16rocsparse_order_S4_T3_S5_S5_T2_NS_24const_host_device_scalarIT1_EEPKT4_lPKT5_lS9_PT6_PKS5_21rocsparse_index_base_b
    .private_segment_fixed_size: 0
    .sgpr_count:     26
    .sgpr_spill_count: 0
    .symbol:         _ZN9rocsparseL16sddmm_ell_kernelILi512ELi4E21rocsparse_complex_numIdEiiS2_S2_S2_EEv20rocsparse_operation_S3_16rocsparse_order_S4_T3_S5_S5_T2_NS_24const_host_device_scalarIT1_EEPKT4_lPKT5_lS9_PT6_PKS5_21rocsparse_index_base_b.kd
    .uniform_work_group_size: 1
    .uses_dynamic_stack: false
    .vgpr_count:     33
    .vgpr_spill_count: 0
    .wavefront_size: 64
  - .args:
      - .offset:         0
        .size:           4
        .value_kind:     by_value
      - .offset:         4
        .size:           4
        .value_kind:     by_value
      - .offset:         8
        .size:           4
        .value_kind:     by_value
      - .offset:         12
        .size:           4
        .value_kind:     by_value
      - .offset:         16
        .size:           4
        .value_kind:     by_value
      - .offset:         20
        .size:           4
        .value_kind:     by_value
      - .offset:         24
        .size:           4
        .value_kind:     by_value
      - .offset:         28
        .size:           4
        .value_kind:     by_value
      - .offset:         32
        .size:           16
        .value_kind:     by_value
      - .actual_access:  read_only
        .address_space:  global
        .offset:         48
        .size:           8
        .value_kind:     global_buffer
      - .offset:         56
        .size:           8
        .value_kind:     by_value
      - .actual_access:  read_only
        .address_space:  global
        .offset:         64
        .size:           8
        .value_kind:     global_buffer
      - .offset:         72
        .size:           8
        .value_kind:     by_value
      - .offset:         80
        .size:           16
        .value_kind:     by_value
      - .address_space:  global
        .offset:         96
        .size:           8
        .value_kind:     global_buffer
      - .actual_access:  read_only
        .address_space:  global
        .offset:         104
        .size:           8
        .value_kind:     global_buffer
      - .offset:         112
        .size:           4
        .value_kind:     by_value
      - .offset:         116
        .size:           1
        .value_kind:     by_value
    .group_segment_fixed_size: 8192
    .kernarg_segment_align: 8
    .kernarg_segment_size: 120
    .language:       OpenCL C
    .language_version:
      - 2
      - 0
    .max_flat_workgroup_size: 512
    .name:           _ZN9rocsparseL16sddmm_ell_kernelILi512ELi2E21rocsparse_complex_numIdEiiS2_S2_S2_EEv20rocsparse_operation_S3_16rocsparse_order_S4_T3_S5_S5_T2_NS_24const_host_device_scalarIT1_EEPKT4_lPKT5_lS9_PT6_PKS5_21rocsparse_index_base_b
    .private_segment_fixed_size: 0
    .sgpr_count:     26
    .sgpr_spill_count: 0
    .symbol:         _ZN9rocsparseL16sddmm_ell_kernelILi512ELi2E21rocsparse_complex_numIdEiiS2_S2_S2_EEv20rocsparse_operation_S3_16rocsparse_order_S4_T3_S5_S5_T2_NS_24const_host_device_scalarIT1_EEPKT4_lPKT5_lS9_PT6_PKS5_21rocsparse_index_base_b.kd
    .uniform_work_group_size: 1
    .uses_dynamic_stack: false
    .vgpr_count:     33
    .vgpr_spill_count: 0
    .wavefront_size: 64
  - .args:
      - .offset:         0
        .size:           4
        .value_kind:     by_value
      - .offset:         4
        .size:           4
        .value_kind:     by_value
      - .offset:         8
        .size:           4
        .value_kind:     by_value
      - .offset:         12
        .size:           4
        .value_kind:     by_value
      - .offset:         16
        .size:           4
        .value_kind:     by_value
      - .offset:         20
        .size:           4
        .value_kind:     by_value
      - .offset:         24
        .size:           4
        .value_kind:     by_value
      - .offset:         28
        .size:           4
        .value_kind:     by_value
      - .offset:         32
        .size:           16
        .value_kind:     by_value
      - .actual_access:  read_only
        .address_space:  global
        .offset:         48
        .size:           8
        .value_kind:     global_buffer
      - .offset:         56
        .size:           8
        .value_kind:     by_value
      - .actual_access:  read_only
        .address_space:  global
        .offset:         64
        .size:           8
        .value_kind:     global_buffer
      - .offset:         72
        .size:           8
        .value_kind:     by_value
      - .offset:         80
        .size:           16
        .value_kind:     by_value
      - .address_space:  global
        .offset:         96
        .size:           8
        .value_kind:     global_buffer
      - .actual_access:  read_only
        .address_space:  global
        .offset:         104
        .size:           8
        .value_kind:     global_buffer
      - .offset:         112
        .size:           4
        .value_kind:     by_value
      - .offset:         116
        .size:           1
        .value_kind:     by_value
    .group_segment_fixed_size: 8192
    .kernarg_segment_align: 8
    .kernarg_segment_size: 120
    .language:       OpenCL C
    .language_version:
      - 2
      - 0
    .max_flat_workgroup_size: 512
    .name:           _ZN9rocsparseL16sddmm_ell_kernelILi512ELi1E21rocsparse_complex_numIdEiiS2_S2_S2_EEv20rocsparse_operation_S3_16rocsparse_order_S4_T3_S5_S5_T2_NS_24const_host_device_scalarIT1_EEPKT4_lPKT5_lS9_PT6_PKS5_21rocsparse_index_base_b
    .private_segment_fixed_size: 0
    .sgpr_count:     26
    .sgpr_spill_count: 0
    .symbol:         _ZN9rocsparseL16sddmm_ell_kernelILi512ELi1E21rocsparse_complex_numIdEiiS2_S2_S2_EEv20rocsparse_operation_S3_16rocsparse_order_S4_T3_S5_S5_T2_NS_24const_host_device_scalarIT1_EEPKT4_lPKT5_lS9_PT6_PKS5_21rocsparse_index_base_b.kd
    .uniform_work_group_size: 1
    .uses_dynamic_stack: false
    .vgpr_count:     31
    .vgpr_spill_count: 0
    .wavefront_size: 64
  - .args:
      - .offset:         0
        .size:           8
        .value_kind:     by_value
      - .offset:         8
        .size:           8
        .value_kind:     by_value
      - .actual_access:  read_only
        .address_space:  global
        .offset:         16
        .size:           8
        .value_kind:     global_buffer
      - .offset:         24
        .size:           8
        .value_kind:     by_value
      - .offset:         32
        .size:           8
        .value_kind:     by_value
      - .actual_access:  write_only
        .address_space:  global
        .offset:         40
        .size:           8
        .value_kind:     global_buffer
      - .actual_access:  read_only
        .address_space:  global
        .offset:         48
        .size:           8
        .value_kind:     global_buffer
      - .offset:         56
        .size:           4
        .value_kind:     by_value
    .group_segment_fixed_size: 0
    .kernarg_segment_align: 8
    .kernarg_segment_size: 60
    .language:       OpenCL C
    .language_version:
      - 2
      - 0
    .max_flat_workgroup_size: 512
    .name:           _ZN9rocsparseL23sddmm_ell_sample_kernelILi16ELi32EDF16_lDF16_EEvT2_S1_PKT3_lS1_PS2_PKS1_21rocsparse_index_base_
    .private_segment_fixed_size: 0
    .sgpr_count:     22
    .sgpr_spill_count: 0
    .symbol:         _ZN9rocsparseL23sddmm_ell_sample_kernelILi16ELi32EDF16_lDF16_EEvT2_S1_PKT3_lS1_PS2_PKS1_21rocsparse_index_base_.kd
    .uniform_work_group_size: 1
    .uses_dynamic_stack: false
    .vgpr_count:     12
    .vgpr_spill_count: 0
    .wavefront_size: 64
  - .args:
      - .offset:         0
        .size:           8
        .value_kind:     by_value
      - .offset:         8
        .size:           8
        .value_kind:     by_value
      - .actual_access:  read_only
        .address_space:  global
        .offset:         16
        .size:           8
        .value_kind:     global_buffer
      - .offset:         24
        .size:           8
        .value_kind:     by_value
      - .offset:         32
        .size:           8
        .value_kind:     by_value
      - .actual_access:  write_only
        .address_space:  global
        .offset:         40
        .size:           8
        .value_kind:     global_buffer
      - .actual_access:  read_only
        .address_space:  global
        .offset:         48
        .size:           8
        .value_kind:     global_buffer
      - .offset:         56
        .size:           4
        .value_kind:     by_value
    .group_segment_fixed_size: 0
    .kernarg_segment_align: 8
    .kernarg_segment_size: 60
    .language:       OpenCL C
    .language_version:
      - 2
      - 0
    .max_flat_workgroup_size: 1024
    .name:           _ZN9rocsparseL23sddmm_ell_sample_kernelILi16ELi64EDF16_lDF16_EEvT2_S1_PKT3_lS1_PS2_PKS1_21rocsparse_index_base_
    .private_segment_fixed_size: 0
    .sgpr_count:     22
    .sgpr_spill_count: 0
    .symbol:         _ZN9rocsparseL23sddmm_ell_sample_kernelILi16ELi64EDF16_lDF16_EEvT2_S1_PKT3_lS1_PS2_PKS1_21rocsparse_index_base_.kd
    .uniform_work_group_size: 1
    .uses_dynamic_stack: false
    .vgpr_count:     12
    .vgpr_spill_count: 0
    .wavefront_size: 64
  - .args:
      - .offset:         0
        .size:           4
        .value_kind:     by_value
      - .offset:         4
        .size:           4
        .value_kind:     by_value
      - .offset:         8
        .size:           4
        .value_kind:     by_value
      - .offset:         12
        .size:           4
        .value_kind:     by_value
      - .offset:         16
        .size:           8
        .value_kind:     by_value
      - .offset:         24
        .size:           8
        .value_kind:     by_value
      - .offset:         32
        .size:           8
        .value_kind:     by_value
      - .offset:         40
        .size:           8
        .value_kind:     by_value
      - .offset:         48
        .size:           8
        .value_kind:     by_value
      - .actual_access:  read_only
        .address_space:  global
        .offset:         56
        .size:           8
        .value_kind:     global_buffer
      - .offset:         64
        .size:           8
        .value_kind:     by_value
      - .actual_access:  read_only
        .address_space:  global
        .offset:         72
        .size:           8
        .value_kind:     global_buffer
      - .offset:         80
        .size:           8
        .value_kind:     by_value
      - .offset:         88
        .size:           8
        .value_kind:     by_value
      - .address_space:  global
        .offset:         96
        .size:           8
        .value_kind:     global_buffer
      - .actual_access:  read_only
        .address_space:  global
        .offset:         104
        .size:           8
        .value_kind:     global_buffer
      - .offset:         112
        .size:           4
        .value_kind:     by_value
      - .offset:         116
        .size:           1
        .value_kind:     by_value
    .group_segment_fixed_size: 1024
    .kernarg_segment_align: 8
    .kernarg_segment_size: 120
    .language:       OpenCL C
    .language_version:
      - 2
      - 0
    .max_flat_workgroup_size: 512
    .name:           _ZN9rocsparseL16sddmm_ell_kernelILi512ELi8EDF16_llDF16_DF16_DF16_EEv20rocsparse_operation_S1_16rocsparse_order_S2_T3_S3_S3_T2_NS_24const_host_device_scalarIT1_EEPKT4_lPKT5_lS7_PT6_PKS3_21rocsparse_index_base_b
    .private_segment_fixed_size: 0
    .sgpr_count:     28
    .sgpr_spill_count: 0
    .symbol:         _ZN9rocsparseL16sddmm_ell_kernelILi512ELi8EDF16_llDF16_DF16_DF16_EEv20rocsparse_operation_S1_16rocsparse_order_S2_T3_S3_S3_T2_NS_24const_host_device_scalarIT1_EEPKT4_lPKT5_lS7_PT6_PKS3_21rocsparse_index_base_b.kd
    .uniform_work_group_size: 1
    .uses_dynamic_stack: false
    .vgpr_count:     17
    .vgpr_spill_count: 0
    .wavefront_size: 64
  - .args:
      - .offset:         0
        .size:           4
        .value_kind:     by_value
      - .offset:         4
        .size:           4
        .value_kind:     by_value
      - .offset:         8
        .size:           4
        .value_kind:     by_value
      - .offset:         12
        .size:           4
        .value_kind:     by_value
      - .offset:         16
        .size:           8
        .value_kind:     by_value
      - .offset:         24
        .size:           8
        .value_kind:     by_value
      - .offset:         32
        .size:           8
        .value_kind:     by_value
      - .offset:         40
        .size:           8
        .value_kind:     by_value
      - .offset:         48
        .size:           8
        .value_kind:     by_value
      - .actual_access:  read_only
        .address_space:  global
        .offset:         56
        .size:           8
        .value_kind:     global_buffer
      - .offset:         64
        .size:           8
        .value_kind:     by_value
      - .actual_access:  read_only
        .address_space:  global
        .offset:         72
        .size:           8
        .value_kind:     global_buffer
      - .offset:         80
        .size:           8
        .value_kind:     by_value
      - .offset:         88
        .size:           8
        .value_kind:     by_value
      - .address_space:  global
        .offset:         96
        .size:           8
        .value_kind:     global_buffer
      - .actual_access:  read_only
        .address_space:  global
        .offset:         104
        .size:           8
        .value_kind:     global_buffer
      - .offset:         112
        .size:           4
        .value_kind:     by_value
      - .offset:         116
        .size:           1
        .value_kind:     by_value
    .group_segment_fixed_size: 1024
    .kernarg_segment_align: 8
    .kernarg_segment_size: 120
    .language:       OpenCL C
    .language_version:
      - 2
      - 0
    .max_flat_workgroup_size: 512
    .name:           _ZN9rocsparseL16sddmm_ell_kernelILi512ELi4EDF16_llDF16_DF16_DF16_EEv20rocsparse_operation_S1_16rocsparse_order_S2_T3_S3_S3_T2_NS_24const_host_device_scalarIT1_EEPKT4_lPKT5_lS7_PT6_PKS3_21rocsparse_index_base_b
    .private_segment_fixed_size: 0
    .sgpr_count:     28
    .sgpr_spill_count: 0
    .symbol:         _ZN9rocsparseL16sddmm_ell_kernelILi512ELi4EDF16_llDF16_DF16_DF16_EEv20rocsparse_operation_S1_16rocsparse_order_S2_T3_S3_S3_T2_NS_24const_host_device_scalarIT1_EEPKT4_lPKT5_lS7_PT6_PKS3_21rocsparse_index_base_b.kd
    .uniform_work_group_size: 1
    .uses_dynamic_stack: false
    .vgpr_count:     17
    .vgpr_spill_count: 0
    .wavefront_size: 64
  - .args:
      - .offset:         0
        .size:           4
        .value_kind:     by_value
      - .offset:         4
        .size:           4
        .value_kind:     by_value
      - .offset:         8
        .size:           4
        .value_kind:     by_value
      - .offset:         12
        .size:           4
        .value_kind:     by_value
      - .offset:         16
        .size:           8
        .value_kind:     by_value
      - .offset:         24
        .size:           8
        .value_kind:     by_value
      - .offset:         32
        .size:           8
        .value_kind:     by_value
      - .offset:         40
        .size:           8
        .value_kind:     by_value
      - .offset:         48
        .size:           8
        .value_kind:     by_value
      - .actual_access:  read_only
        .address_space:  global
        .offset:         56
        .size:           8
        .value_kind:     global_buffer
      - .offset:         64
        .size:           8
        .value_kind:     by_value
      - .actual_access:  read_only
        .address_space:  global
        .offset:         72
        .size:           8
        .value_kind:     global_buffer
      - .offset:         80
        .size:           8
        .value_kind:     by_value
      - .offset:         88
        .size:           8
        .value_kind:     by_value
      - .address_space:  global
        .offset:         96
        .size:           8
        .value_kind:     global_buffer
      - .actual_access:  read_only
        .address_space:  global
        .offset:         104
        .size:           8
        .value_kind:     global_buffer
      - .offset:         112
        .size:           4
        .value_kind:     by_value
      - .offset:         116
        .size:           1
        .value_kind:     by_value
    .group_segment_fixed_size: 1024
    .kernarg_segment_align: 8
    .kernarg_segment_size: 120
    .language:       OpenCL C
    .language_version:
      - 2
      - 0
    .max_flat_workgroup_size: 512
    .name:           _ZN9rocsparseL16sddmm_ell_kernelILi512ELi2EDF16_llDF16_DF16_DF16_EEv20rocsparse_operation_S1_16rocsparse_order_S2_T3_S3_S3_T2_NS_24const_host_device_scalarIT1_EEPKT4_lPKT5_lS7_PT6_PKS3_21rocsparse_index_base_b
    .private_segment_fixed_size: 0
    .sgpr_count:     28
    .sgpr_spill_count: 0
    .symbol:         _ZN9rocsparseL16sddmm_ell_kernelILi512ELi2EDF16_llDF16_DF16_DF16_EEv20rocsparse_operation_S1_16rocsparse_order_S2_T3_S3_S3_T2_NS_24const_host_device_scalarIT1_EEPKT4_lPKT5_lS7_PT6_PKS3_21rocsparse_index_base_b.kd
    .uniform_work_group_size: 1
    .uses_dynamic_stack: false
    .vgpr_count:     17
    .vgpr_spill_count: 0
    .wavefront_size: 64
  - .args:
      - .offset:         0
        .size:           4
        .value_kind:     by_value
      - .offset:         4
        .size:           4
        .value_kind:     by_value
      - .offset:         8
        .size:           4
        .value_kind:     by_value
      - .offset:         12
        .size:           4
        .value_kind:     by_value
      - .offset:         16
        .size:           8
        .value_kind:     by_value
      - .offset:         24
        .size:           8
        .value_kind:     by_value
      - .offset:         32
        .size:           8
        .value_kind:     by_value
      - .offset:         40
        .size:           8
        .value_kind:     by_value
      - .offset:         48
        .size:           8
        .value_kind:     by_value
      - .actual_access:  read_only
        .address_space:  global
        .offset:         56
        .size:           8
        .value_kind:     global_buffer
      - .offset:         64
        .size:           8
        .value_kind:     by_value
      - .actual_access:  read_only
        .address_space:  global
        .offset:         72
        .size:           8
        .value_kind:     global_buffer
      - .offset:         80
        .size:           8
        .value_kind:     by_value
      - .offset:         88
        .size:           8
        .value_kind:     by_value
      - .address_space:  global
        .offset:         96
        .size:           8
        .value_kind:     global_buffer
      - .actual_access:  read_only
        .address_space:  global
        .offset:         104
        .size:           8
        .value_kind:     global_buffer
      - .offset:         112
        .size:           4
        .value_kind:     by_value
      - .offset:         116
        .size:           1
        .value_kind:     by_value
    .group_segment_fixed_size: 1024
    .kernarg_segment_align: 8
    .kernarg_segment_size: 120
    .language:       OpenCL C
    .language_version:
      - 2
      - 0
    .max_flat_workgroup_size: 512
    .name:           _ZN9rocsparseL16sddmm_ell_kernelILi512ELi1EDF16_llDF16_DF16_DF16_EEv20rocsparse_operation_S1_16rocsparse_order_S2_T3_S3_S3_T2_NS_24const_host_device_scalarIT1_EEPKT4_lPKT5_lS7_PT6_PKS3_21rocsparse_index_base_b
    .private_segment_fixed_size: 0
    .sgpr_count:     28
    .sgpr_spill_count: 0
    .symbol:         _ZN9rocsparseL16sddmm_ell_kernelILi512ELi1EDF16_llDF16_DF16_DF16_EEv20rocsparse_operation_S1_16rocsparse_order_S2_T3_S3_S3_T2_NS_24const_host_device_scalarIT1_EEPKT4_lPKT5_lS7_PT6_PKS3_21rocsparse_index_base_b.kd
    .uniform_work_group_size: 1
    .uses_dynamic_stack: false
    .vgpr_count:     14
    .vgpr_spill_count: 0
    .wavefront_size: 64
  - .args:
      - .offset:         0
        .size:           8
        .value_kind:     by_value
      - .offset:         8
        .size:           8
        .value_kind:     by_value
      - .actual_access:  read_only
        .address_space:  global
        .offset:         16
        .size:           8
        .value_kind:     global_buffer
      - .offset:         24
        .size:           8
        .value_kind:     by_value
      - .offset:         32
        .size:           8
        .value_kind:     by_value
      - .actual_access:  write_only
        .address_space:  global
        .offset:         40
        .size:           8
        .value_kind:     global_buffer
      - .actual_access:  read_only
        .address_space:  global
        .offset:         48
        .size:           8
        .value_kind:     global_buffer
      - .offset:         56
        .size:           4
        .value_kind:     by_value
    .group_segment_fixed_size: 0
    .kernarg_segment_align: 8
    .kernarg_segment_size: 60
    .language:       OpenCL C
    .language_version:
      - 2
      - 0
    .max_flat_workgroup_size: 512
    .name:           _ZN9rocsparseL23sddmm_ell_sample_kernelILi16ELi32EflfEEvT2_S1_PKT3_lS1_PS2_PKS1_21rocsparse_index_base_
    .private_segment_fixed_size: 0
    .sgpr_count:     22
    .sgpr_spill_count: 0
    .symbol:         _ZN9rocsparseL23sddmm_ell_sample_kernelILi16ELi32EflfEEvT2_S1_PKT3_lS1_PS2_PKS1_21rocsparse_index_base_.kd
    .uniform_work_group_size: 1
    .uses_dynamic_stack: false
    .vgpr_count:     12
    .vgpr_spill_count: 0
    .wavefront_size: 64
  - .args:
      - .offset:         0
        .size:           8
        .value_kind:     by_value
      - .offset:         8
        .size:           8
        .value_kind:     by_value
      - .actual_access:  read_only
        .address_space:  global
        .offset:         16
        .size:           8
        .value_kind:     global_buffer
      - .offset:         24
        .size:           8
        .value_kind:     by_value
      - .offset:         32
        .size:           8
        .value_kind:     by_value
      - .actual_access:  write_only
        .address_space:  global
        .offset:         40
        .size:           8
        .value_kind:     global_buffer
      - .actual_access:  read_only
        .address_space:  global
        .offset:         48
        .size:           8
        .value_kind:     global_buffer
      - .offset:         56
        .size:           4
        .value_kind:     by_value
    .group_segment_fixed_size: 0
    .kernarg_segment_align: 8
    .kernarg_segment_size: 60
    .language:       OpenCL C
    .language_version:
      - 2
      - 0
    .max_flat_workgroup_size: 1024
    .name:           _ZN9rocsparseL23sddmm_ell_sample_kernelILi16ELi64EflfEEvT2_S1_PKT3_lS1_PS2_PKS1_21rocsparse_index_base_
    .private_segment_fixed_size: 0
    .sgpr_count:     22
    .sgpr_spill_count: 0
    .symbol:         _ZN9rocsparseL23sddmm_ell_sample_kernelILi16ELi64EflfEEvT2_S1_PKT3_lS1_PS2_PKS1_21rocsparse_index_base_.kd
    .uniform_work_group_size: 1
    .uses_dynamic_stack: false
    .vgpr_count:     12
    .vgpr_spill_count: 0
    .wavefront_size: 64
  - .args:
      - .offset:         0
        .size:           4
        .value_kind:     by_value
      - .offset:         4
        .size:           4
        .value_kind:     by_value
      - .offset:         8
        .size:           4
        .value_kind:     by_value
      - .offset:         12
        .size:           4
        .value_kind:     by_value
      - .offset:         16
        .size:           8
        .value_kind:     by_value
      - .offset:         24
        .size:           8
        .value_kind:     by_value
      - .offset:         32
        .size:           8
        .value_kind:     by_value
      - .offset:         40
        .size:           8
        .value_kind:     by_value
      - .offset:         48
        .size:           8
        .value_kind:     by_value
      - .actual_access:  read_only
        .address_space:  global
        .offset:         56
        .size:           8
        .value_kind:     global_buffer
      - .offset:         64
        .size:           8
        .value_kind:     by_value
      - .actual_access:  read_only
        .address_space:  global
        .offset:         72
        .size:           8
        .value_kind:     global_buffer
      - .offset:         80
        .size:           8
        .value_kind:     by_value
      - .offset:         88
        .size:           8
        .value_kind:     by_value
      - .address_space:  global
        .offset:         96
        .size:           8
        .value_kind:     global_buffer
      - .actual_access:  read_only
        .address_space:  global
        .offset:         104
        .size:           8
        .value_kind:     global_buffer
      - .offset:         112
        .size:           4
        .value_kind:     by_value
      - .offset:         116
        .size:           1
        .value_kind:     by_value
    .group_segment_fixed_size: 2048
    .kernarg_segment_align: 8
    .kernarg_segment_size: 120
    .language:       OpenCL C
    .language_version:
      - 2
      - 0
    .max_flat_workgroup_size: 512
    .name:           _ZN9rocsparseL16sddmm_ell_kernelILi512ELi8EfllfffEEv20rocsparse_operation_S1_16rocsparse_order_S2_T3_S3_S3_T2_NS_24const_host_device_scalarIT1_EEPKT4_lPKT5_lS7_PT6_PKS3_21rocsparse_index_base_b
    .private_segment_fixed_size: 0
    .sgpr_count:     30
    .sgpr_spill_count: 0
    .symbol:         _ZN9rocsparseL16sddmm_ell_kernelILi512ELi8EfllfffEEv20rocsparse_operation_S1_16rocsparse_order_S2_T3_S3_S3_T2_NS_24const_host_device_scalarIT1_EEPKT4_lPKT5_lS7_PT6_PKS3_21rocsparse_index_base_b.kd
    .uniform_work_group_size: 1
    .uses_dynamic_stack: false
    .vgpr_count:     15
    .vgpr_spill_count: 0
    .wavefront_size: 64
  - .args:
      - .offset:         0
        .size:           4
        .value_kind:     by_value
      - .offset:         4
        .size:           4
        .value_kind:     by_value
      - .offset:         8
        .size:           4
        .value_kind:     by_value
      - .offset:         12
        .size:           4
        .value_kind:     by_value
      - .offset:         16
        .size:           8
        .value_kind:     by_value
      - .offset:         24
        .size:           8
        .value_kind:     by_value
      - .offset:         32
        .size:           8
        .value_kind:     by_value
      - .offset:         40
        .size:           8
        .value_kind:     by_value
      - .offset:         48
        .size:           8
        .value_kind:     by_value
      - .actual_access:  read_only
        .address_space:  global
        .offset:         56
        .size:           8
        .value_kind:     global_buffer
      - .offset:         64
        .size:           8
        .value_kind:     by_value
      - .actual_access:  read_only
        .address_space:  global
        .offset:         72
        .size:           8
        .value_kind:     global_buffer
      - .offset:         80
        .size:           8
        .value_kind:     by_value
      - .offset:         88
        .size:           8
        .value_kind:     by_value
      - .address_space:  global
        .offset:         96
        .size:           8
        .value_kind:     global_buffer
      - .actual_access:  read_only
        .address_space:  global
        .offset:         104
        .size:           8
        .value_kind:     global_buffer
      - .offset:         112
        .size:           4
        .value_kind:     by_value
      - .offset:         116
        .size:           1
        .value_kind:     by_value
    .group_segment_fixed_size: 2048
    .kernarg_segment_align: 8
    .kernarg_segment_size: 120
    .language:       OpenCL C
    .language_version:
      - 2
      - 0
    .max_flat_workgroup_size: 512
    .name:           _ZN9rocsparseL16sddmm_ell_kernelILi512ELi4EfllfffEEv20rocsparse_operation_S1_16rocsparse_order_S2_T3_S3_S3_T2_NS_24const_host_device_scalarIT1_EEPKT4_lPKT5_lS7_PT6_PKS3_21rocsparse_index_base_b
    .private_segment_fixed_size: 0
    .sgpr_count:     30
    .sgpr_spill_count: 0
    .symbol:         _ZN9rocsparseL16sddmm_ell_kernelILi512ELi4EfllfffEEv20rocsparse_operation_S1_16rocsparse_order_S2_T3_S3_S3_T2_NS_24const_host_device_scalarIT1_EEPKT4_lPKT5_lS7_PT6_PKS3_21rocsparse_index_base_b.kd
    .uniform_work_group_size: 1
    .uses_dynamic_stack: false
    .vgpr_count:     15
    .vgpr_spill_count: 0
    .wavefront_size: 64
  - .args:
      - .offset:         0
        .size:           4
        .value_kind:     by_value
      - .offset:         4
        .size:           4
        .value_kind:     by_value
      - .offset:         8
        .size:           4
        .value_kind:     by_value
      - .offset:         12
        .size:           4
        .value_kind:     by_value
      - .offset:         16
        .size:           8
        .value_kind:     by_value
      - .offset:         24
        .size:           8
        .value_kind:     by_value
      - .offset:         32
        .size:           8
        .value_kind:     by_value
      - .offset:         40
        .size:           8
        .value_kind:     by_value
      - .offset:         48
        .size:           8
        .value_kind:     by_value
      - .actual_access:  read_only
        .address_space:  global
        .offset:         56
        .size:           8
        .value_kind:     global_buffer
      - .offset:         64
        .size:           8
        .value_kind:     by_value
      - .actual_access:  read_only
        .address_space:  global
        .offset:         72
        .size:           8
        .value_kind:     global_buffer
      - .offset:         80
        .size:           8
        .value_kind:     by_value
      - .offset:         88
        .size:           8
        .value_kind:     by_value
      - .address_space:  global
        .offset:         96
        .size:           8
        .value_kind:     global_buffer
      - .actual_access:  read_only
        .address_space:  global
        .offset:         104
        .size:           8
        .value_kind:     global_buffer
      - .offset:         112
        .size:           4
        .value_kind:     by_value
      - .offset:         116
        .size:           1
        .value_kind:     by_value
    .group_segment_fixed_size: 2048
    .kernarg_segment_align: 8
    .kernarg_segment_size: 120
    .language:       OpenCL C
    .language_version:
      - 2
      - 0
    .max_flat_workgroup_size: 512
    .name:           _ZN9rocsparseL16sddmm_ell_kernelILi512ELi2EfllfffEEv20rocsparse_operation_S1_16rocsparse_order_S2_T3_S3_S3_T2_NS_24const_host_device_scalarIT1_EEPKT4_lPKT5_lS7_PT6_PKS3_21rocsparse_index_base_b
    .private_segment_fixed_size: 0
    .sgpr_count:     30
    .sgpr_spill_count: 0
    .symbol:         _ZN9rocsparseL16sddmm_ell_kernelILi512ELi2EfllfffEEv20rocsparse_operation_S1_16rocsparse_order_S2_T3_S3_S3_T2_NS_24const_host_device_scalarIT1_EEPKT4_lPKT5_lS7_PT6_PKS3_21rocsparse_index_base_b.kd
    .uniform_work_group_size: 1
    .uses_dynamic_stack: false
    .vgpr_count:     15
    .vgpr_spill_count: 0
    .wavefront_size: 64
  - .args:
      - .offset:         0
        .size:           4
        .value_kind:     by_value
      - .offset:         4
        .size:           4
        .value_kind:     by_value
      - .offset:         8
        .size:           4
        .value_kind:     by_value
      - .offset:         12
        .size:           4
        .value_kind:     by_value
      - .offset:         16
        .size:           8
        .value_kind:     by_value
      - .offset:         24
        .size:           8
        .value_kind:     by_value
      - .offset:         32
        .size:           8
        .value_kind:     by_value
      - .offset:         40
        .size:           8
        .value_kind:     by_value
      - .offset:         48
        .size:           8
        .value_kind:     by_value
      - .actual_access:  read_only
        .address_space:  global
        .offset:         56
        .size:           8
        .value_kind:     global_buffer
      - .offset:         64
        .size:           8
        .value_kind:     by_value
      - .actual_access:  read_only
        .address_space:  global
        .offset:         72
        .size:           8
        .value_kind:     global_buffer
      - .offset:         80
        .size:           8
        .value_kind:     by_value
      - .offset:         88
        .size:           8
        .value_kind:     by_value
      - .address_space:  global
        .offset:         96
        .size:           8
        .value_kind:     global_buffer
      - .actual_access:  read_only
        .address_space:  global
        .offset:         104
        .size:           8
        .value_kind:     global_buffer
      - .offset:         112
        .size:           4
        .value_kind:     by_value
      - .offset:         116
        .size:           1
        .value_kind:     by_value
    .group_segment_fixed_size: 2048
    .kernarg_segment_align: 8
    .kernarg_segment_size: 120
    .language:       OpenCL C
    .language_version:
      - 2
      - 0
    .max_flat_workgroup_size: 512
    .name:           _ZN9rocsparseL16sddmm_ell_kernelILi512ELi1EfllfffEEv20rocsparse_operation_S1_16rocsparse_order_S2_T3_S3_S3_T2_NS_24const_host_device_scalarIT1_EEPKT4_lPKT5_lS7_PT6_PKS3_21rocsparse_index_base_b
    .private_segment_fixed_size: 0
    .sgpr_count:     30
    .sgpr_spill_count: 0
    .symbol:         _ZN9rocsparseL16sddmm_ell_kernelILi512ELi1EfllfffEEv20rocsparse_operation_S1_16rocsparse_order_S2_T3_S3_S3_T2_NS_24const_host_device_scalarIT1_EEPKT4_lPKT5_lS7_PT6_PKS3_21rocsparse_index_base_b.kd
    .uniform_work_group_size: 1
    .uses_dynamic_stack: false
    .vgpr_count:     12
    .vgpr_spill_count: 0
    .wavefront_size: 64
  - .args:
      - .offset:         0
        .size:           8
        .value_kind:     by_value
      - .offset:         8
        .size:           8
        .value_kind:     by_value
      - .actual_access:  read_only
        .address_space:  global
        .offset:         16
        .size:           8
        .value_kind:     global_buffer
      - .offset:         24
        .size:           8
        .value_kind:     by_value
      - .offset:         32
        .size:           8
        .value_kind:     by_value
      - .actual_access:  write_only
        .address_space:  global
        .offset:         40
        .size:           8
        .value_kind:     global_buffer
      - .actual_access:  read_only
        .address_space:  global
        .offset:         48
        .size:           8
        .value_kind:     global_buffer
      - .offset:         56
        .size:           4
        .value_kind:     by_value
    .group_segment_fixed_size: 0
    .kernarg_segment_align: 8
    .kernarg_segment_size: 60
    .language:       OpenCL C
    .language_version:
      - 2
      - 0
    .max_flat_workgroup_size: 512
    .name:           _ZN9rocsparseL23sddmm_ell_sample_kernelILi16ELi32EdldEEvT2_S1_PKT3_lS1_PS2_PKS1_21rocsparse_index_base_
    .private_segment_fixed_size: 0
    .sgpr_count:     22
    .sgpr_spill_count: 0
    .symbol:         _ZN9rocsparseL23sddmm_ell_sample_kernelILi16ELi32EdldEEvT2_S1_PKT3_lS1_PS2_PKS1_21rocsparse_index_base_.kd
    .uniform_work_group_size: 1
    .uses_dynamic_stack: false
    .vgpr_count:     12
    .vgpr_spill_count: 0
    .wavefront_size: 64
  - .args:
      - .offset:         0
        .size:           8
        .value_kind:     by_value
      - .offset:         8
        .size:           8
        .value_kind:     by_value
      - .actual_access:  read_only
        .address_space:  global
        .offset:         16
        .size:           8
        .value_kind:     global_buffer
      - .offset:         24
        .size:           8
        .value_kind:     by_value
      - .offset:         32
        .size:           8
        .value_kind:     by_value
      - .actual_access:  write_only
        .address_space:  global
        .offset:         40
        .size:           8
        .value_kind:     global_buffer
      - .actual_access:  read_only
        .address_space:  global
        .offset:         48
        .size:           8
        .value_kind:     global_buffer
      - .offset:         56
        .size:           4
        .value_kind:     by_value
    .group_segment_fixed_size: 0
    .kernarg_segment_align: 8
    .kernarg_segment_size: 60
    .language:       OpenCL C
    .language_version:
      - 2
      - 0
    .max_flat_workgroup_size: 1024
    .name:           _ZN9rocsparseL23sddmm_ell_sample_kernelILi16ELi64EdldEEvT2_S1_PKT3_lS1_PS2_PKS1_21rocsparse_index_base_
    .private_segment_fixed_size: 0
    .sgpr_count:     22
    .sgpr_spill_count: 0
    .symbol:         _ZN9rocsparseL23sddmm_ell_sample_kernelILi16ELi64EdldEEvT2_S1_PKT3_lS1_PS2_PKS1_21rocsparse_index_base_.kd
    .uniform_work_group_size: 1
    .uses_dynamic_stack: false
    .vgpr_count:     12
    .vgpr_spill_count: 0
    .wavefront_size: 64
  - .args:
      - .offset:         0
        .size:           4
        .value_kind:     by_value
      - .offset:         4
        .size:           4
        .value_kind:     by_value
      - .offset:         8
        .size:           4
        .value_kind:     by_value
      - .offset:         12
        .size:           4
        .value_kind:     by_value
      - .offset:         16
        .size:           8
        .value_kind:     by_value
      - .offset:         24
        .size:           8
        .value_kind:     by_value
      - .offset:         32
        .size:           8
        .value_kind:     by_value
      - .offset:         40
        .size:           8
        .value_kind:     by_value
      - .offset:         48
        .size:           8
        .value_kind:     by_value
      - .actual_access:  read_only
        .address_space:  global
        .offset:         56
        .size:           8
        .value_kind:     global_buffer
      - .offset:         64
        .size:           8
        .value_kind:     by_value
      - .actual_access:  read_only
        .address_space:  global
        .offset:         72
        .size:           8
        .value_kind:     global_buffer
      - .offset:         80
        .size:           8
        .value_kind:     by_value
      - .offset:         88
        .size:           8
        .value_kind:     by_value
      - .address_space:  global
        .offset:         96
        .size:           8
        .value_kind:     global_buffer
      - .actual_access:  read_only
        .address_space:  global
        .offset:         104
        .size:           8
        .value_kind:     global_buffer
      - .offset:         112
        .size:           4
        .value_kind:     by_value
      - .offset:         116
        .size:           1
        .value_kind:     by_value
    .group_segment_fixed_size: 4096
    .kernarg_segment_align: 8
    .kernarg_segment_size: 120
    .language:       OpenCL C
    .language_version:
      - 2
      - 0
    .max_flat_workgroup_size: 512
    .name:           _ZN9rocsparseL16sddmm_ell_kernelILi512ELi8EdlldddEEv20rocsparse_operation_S1_16rocsparse_order_S2_T3_S3_S3_T2_NS_24const_host_device_scalarIT1_EEPKT4_lPKT5_lS7_PT6_PKS3_21rocsparse_index_base_b
    .private_segment_fixed_size: 0
    .sgpr_count:     28
    .sgpr_spill_count: 0
    .symbol:         _ZN9rocsparseL16sddmm_ell_kernelILi512ELi8EdlldddEEv20rocsparse_operation_S1_16rocsparse_order_S2_T3_S3_S3_T2_NS_24const_host_device_scalarIT1_EEPKT4_lPKT5_lS7_PT6_PKS3_21rocsparse_index_base_b.kd
    .uniform_work_group_size: 1
    .uses_dynamic_stack: false
    .vgpr_count:     23
    .vgpr_spill_count: 0
    .wavefront_size: 64
  - .args:
      - .offset:         0
        .size:           4
        .value_kind:     by_value
      - .offset:         4
        .size:           4
        .value_kind:     by_value
      - .offset:         8
        .size:           4
        .value_kind:     by_value
      - .offset:         12
        .size:           4
        .value_kind:     by_value
      - .offset:         16
        .size:           8
        .value_kind:     by_value
      - .offset:         24
        .size:           8
        .value_kind:     by_value
      - .offset:         32
        .size:           8
        .value_kind:     by_value
      - .offset:         40
        .size:           8
        .value_kind:     by_value
      - .offset:         48
        .size:           8
        .value_kind:     by_value
      - .actual_access:  read_only
        .address_space:  global
        .offset:         56
        .size:           8
        .value_kind:     global_buffer
      - .offset:         64
        .size:           8
        .value_kind:     by_value
      - .actual_access:  read_only
        .address_space:  global
        .offset:         72
        .size:           8
        .value_kind:     global_buffer
      - .offset:         80
        .size:           8
        .value_kind:     by_value
      - .offset:         88
        .size:           8
        .value_kind:     by_value
      - .address_space:  global
        .offset:         96
        .size:           8
        .value_kind:     global_buffer
      - .actual_access:  read_only
        .address_space:  global
        .offset:         104
        .size:           8
        .value_kind:     global_buffer
      - .offset:         112
        .size:           4
        .value_kind:     by_value
      - .offset:         116
        .size:           1
        .value_kind:     by_value
    .group_segment_fixed_size: 4096
    .kernarg_segment_align: 8
    .kernarg_segment_size: 120
    .language:       OpenCL C
    .language_version:
      - 2
      - 0
    .max_flat_workgroup_size: 512
    .name:           _ZN9rocsparseL16sddmm_ell_kernelILi512ELi4EdlldddEEv20rocsparse_operation_S1_16rocsparse_order_S2_T3_S3_S3_T2_NS_24const_host_device_scalarIT1_EEPKT4_lPKT5_lS7_PT6_PKS3_21rocsparse_index_base_b
    .private_segment_fixed_size: 0
    .sgpr_count:     28
    .sgpr_spill_count: 0
    .symbol:         _ZN9rocsparseL16sddmm_ell_kernelILi512ELi4EdlldddEEv20rocsparse_operation_S1_16rocsparse_order_S2_T3_S3_S3_T2_NS_24const_host_device_scalarIT1_EEPKT4_lPKT5_lS7_PT6_PKS3_21rocsparse_index_base_b.kd
    .uniform_work_group_size: 1
    .uses_dynamic_stack: false
    .vgpr_count:     23
    .vgpr_spill_count: 0
    .wavefront_size: 64
  - .args:
      - .offset:         0
        .size:           4
        .value_kind:     by_value
      - .offset:         4
        .size:           4
        .value_kind:     by_value
      - .offset:         8
        .size:           4
        .value_kind:     by_value
      - .offset:         12
        .size:           4
        .value_kind:     by_value
      - .offset:         16
        .size:           8
        .value_kind:     by_value
      - .offset:         24
        .size:           8
        .value_kind:     by_value
      - .offset:         32
        .size:           8
        .value_kind:     by_value
      - .offset:         40
        .size:           8
        .value_kind:     by_value
      - .offset:         48
        .size:           8
        .value_kind:     by_value
      - .actual_access:  read_only
        .address_space:  global
        .offset:         56
        .size:           8
        .value_kind:     global_buffer
      - .offset:         64
        .size:           8
        .value_kind:     by_value
      - .actual_access:  read_only
        .address_space:  global
        .offset:         72
        .size:           8
        .value_kind:     global_buffer
      - .offset:         80
        .size:           8
        .value_kind:     by_value
      - .offset:         88
        .size:           8
        .value_kind:     by_value
      - .address_space:  global
        .offset:         96
        .size:           8
        .value_kind:     global_buffer
      - .actual_access:  read_only
        .address_space:  global
        .offset:         104
        .size:           8
        .value_kind:     global_buffer
      - .offset:         112
        .size:           4
        .value_kind:     by_value
      - .offset:         116
        .size:           1
        .value_kind:     by_value
    .group_segment_fixed_size: 4096
    .kernarg_segment_align: 8
    .kernarg_segment_size: 120
    .language:       OpenCL C
    .language_version:
      - 2
      - 0
    .max_flat_workgroup_size: 512
    .name:           _ZN9rocsparseL16sddmm_ell_kernelILi512ELi2EdlldddEEv20rocsparse_operation_S1_16rocsparse_order_S2_T3_S3_S3_T2_NS_24const_host_device_scalarIT1_EEPKT4_lPKT5_lS7_PT6_PKS3_21rocsparse_index_base_b
    .private_segment_fixed_size: 0
    .sgpr_count:     28
    .sgpr_spill_count: 0
    .symbol:         _ZN9rocsparseL16sddmm_ell_kernelILi512ELi2EdlldddEEv20rocsparse_operation_S1_16rocsparse_order_S2_T3_S3_S3_T2_NS_24const_host_device_scalarIT1_EEPKT4_lPKT5_lS7_PT6_PKS3_21rocsparse_index_base_b.kd
    .uniform_work_group_size: 1
    .uses_dynamic_stack: false
    .vgpr_count:     23
    .vgpr_spill_count: 0
    .wavefront_size: 64
  - .args:
      - .offset:         0
        .size:           4
        .value_kind:     by_value
      - .offset:         4
        .size:           4
        .value_kind:     by_value
      - .offset:         8
        .size:           4
        .value_kind:     by_value
      - .offset:         12
        .size:           4
        .value_kind:     by_value
      - .offset:         16
        .size:           8
        .value_kind:     by_value
      - .offset:         24
        .size:           8
        .value_kind:     by_value
      - .offset:         32
        .size:           8
        .value_kind:     by_value
      - .offset:         40
        .size:           8
        .value_kind:     by_value
      - .offset:         48
        .size:           8
        .value_kind:     by_value
      - .actual_access:  read_only
        .address_space:  global
        .offset:         56
        .size:           8
        .value_kind:     global_buffer
      - .offset:         64
        .size:           8
        .value_kind:     by_value
      - .actual_access:  read_only
        .address_space:  global
        .offset:         72
        .size:           8
        .value_kind:     global_buffer
      - .offset:         80
        .size:           8
        .value_kind:     by_value
      - .offset:         88
        .size:           8
        .value_kind:     by_value
      - .address_space:  global
        .offset:         96
        .size:           8
        .value_kind:     global_buffer
      - .actual_access:  read_only
        .address_space:  global
        .offset:         104
        .size:           8
        .value_kind:     global_buffer
      - .offset:         112
        .size:           4
        .value_kind:     by_value
      - .offset:         116
        .size:           1
        .value_kind:     by_value
    .group_segment_fixed_size: 4096
    .kernarg_segment_align: 8
    .kernarg_segment_size: 120
    .language:       OpenCL C
    .language_version:
      - 2
      - 0
    .max_flat_workgroup_size: 512
    .name:           _ZN9rocsparseL16sddmm_ell_kernelILi512ELi1EdlldddEEv20rocsparse_operation_S1_16rocsparse_order_S2_T3_S3_S3_T2_NS_24const_host_device_scalarIT1_EEPKT4_lPKT5_lS7_PT6_PKS3_21rocsparse_index_base_b
    .private_segment_fixed_size: 0
    .sgpr_count:     28
    .sgpr_spill_count: 0
    .symbol:         _ZN9rocsparseL16sddmm_ell_kernelILi512ELi1EdlldddEEv20rocsparse_operation_S1_16rocsparse_order_S2_T3_S3_S3_T2_NS_24const_host_device_scalarIT1_EEPKT4_lPKT5_lS7_PT6_PKS3_21rocsparse_index_base_b.kd
    .uniform_work_group_size: 1
    .uses_dynamic_stack: false
    .vgpr_count:     19
    .vgpr_spill_count: 0
    .wavefront_size: 64
  - .args:
      - .offset:         0
        .size:           8
        .value_kind:     by_value
      - .offset:         8
        .size:           8
        .value_kind:     by_value
      - .actual_access:  read_only
        .address_space:  global
        .offset:         16
        .size:           8
        .value_kind:     global_buffer
      - .offset:         24
        .size:           8
        .value_kind:     by_value
      - .offset:         32
        .size:           8
        .value_kind:     by_value
      - .actual_access:  write_only
        .address_space:  global
        .offset:         40
        .size:           8
        .value_kind:     global_buffer
      - .actual_access:  read_only
        .address_space:  global
        .offset:         48
        .size:           8
        .value_kind:     global_buffer
      - .offset:         56
        .size:           4
        .value_kind:     by_value
    .group_segment_fixed_size: 0
    .kernarg_segment_align: 8
    .kernarg_segment_size: 60
    .language:       OpenCL C
    .language_version:
      - 2
      - 0
    .max_flat_workgroup_size: 512
    .name:           _ZN9rocsparseL23sddmm_ell_sample_kernelILi16ELi32E21rocsparse_complex_numIfElS2_EEvT2_S3_PKT3_lS3_PS4_PKS3_21rocsparse_index_base_
    .private_segment_fixed_size: 0
    .sgpr_count:     22
    .sgpr_spill_count: 0
    .symbol:         _ZN9rocsparseL23sddmm_ell_sample_kernelILi16ELi32E21rocsparse_complex_numIfElS2_EEvT2_S3_PKT3_lS3_PS4_PKS3_21rocsparse_index_base_.kd
    .uniform_work_group_size: 1
    .uses_dynamic_stack: false
    .vgpr_count:     12
    .vgpr_spill_count: 0
    .wavefront_size: 64
  - .args:
      - .offset:         0
        .size:           8
        .value_kind:     by_value
      - .offset:         8
        .size:           8
        .value_kind:     by_value
      - .actual_access:  read_only
        .address_space:  global
        .offset:         16
        .size:           8
        .value_kind:     global_buffer
      - .offset:         24
        .size:           8
        .value_kind:     by_value
      - .offset:         32
        .size:           8
        .value_kind:     by_value
      - .actual_access:  write_only
        .address_space:  global
        .offset:         40
        .size:           8
        .value_kind:     global_buffer
      - .actual_access:  read_only
        .address_space:  global
        .offset:         48
        .size:           8
        .value_kind:     global_buffer
      - .offset:         56
        .size:           4
        .value_kind:     by_value
    .group_segment_fixed_size: 0
    .kernarg_segment_align: 8
    .kernarg_segment_size: 60
    .language:       OpenCL C
    .language_version:
      - 2
      - 0
    .max_flat_workgroup_size: 1024
    .name:           _ZN9rocsparseL23sddmm_ell_sample_kernelILi16ELi64E21rocsparse_complex_numIfElS2_EEvT2_S3_PKT3_lS3_PS4_PKS3_21rocsparse_index_base_
    .private_segment_fixed_size: 0
    .sgpr_count:     22
    .sgpr_spill_count: 0
    .symbol:         _ZN9rocsparseL23sddmm_ell_sample_kernelILi16ELi64E21rocsparse_complex_numIfElS2_EEvT2_S3_PKT3_lS3_PS4_PKS3_21rocsparse_index_base_.kd
    .uniform_work_group_size: 1
    .uses_dynamic_stack: false
    .vgpr_count:     12
    .vgpr_spill_count: 0
    .wavefront_size: 64
  - .args:
      - .offset:         0
        .size:           4
        .value_kind:     by_value
      - .offset:         4
        .size:           4
        .value_kind:     by_value
      - .offset:         8
        .size:           4
        .value_kind:     by_value
      - .offset:         12
        .size:           4
        .value_kind:     by_value
      - .offset:         16
        .size:           8
        .value_kind:     by_value
      - .offset:         24
        .size:           8
        .value_kind:     by_value
      - .offset:         32
        .size:           8
        .value_kind:     by_value
      - .offset:         40
        .size:           8
        .value_kind:     by_value
      - .offset:         48
        .size:           8
        .value_kind:     by_value
      - .actual_access:  read_only
        .address_space:  global
        .offset:         56
        .size:           8
        .value_kind:     global_buffer
      - .offset:         64
        .size:           8
        .value_kind:     by_value
      - .actual_access:  read_only
        .address_space:  global
        .offset:         72
        .size:           8
        .value_kind:     global_buffer
      - .offset:         80
        .size:           8
        .value_kind:     by_value
      - .offset:         88
        .size:           8
        .value_kind:     by_value
      - .address_space:  global
        .offset:         96
        .size:           8
        .value_kind:     global_buffer
      - .actual_access:  read_only
        .address_space:  global
        .offset:         104
        .size:           8
        .value_kind:     global_buffer
      - .offset:         112
        .size:           4
        .value_kind:     by_value
      - .offset:         116
        .size:           1
        .value_kind:     by_value
    .group_segment_fixed_size: 4096
    .kernarg_segment_align: 8
    .kernarg_segment_size: 120
    .language:       OpenCL C
    .language_version:
      - 2
      - 0
    .max_flat_workgroup_size: 512
    .name:           _ZN9rocsparseL16sddmm_ell_kernelILi512ELi8E21rocsparse_complex_numIfEllS2_S2_S2_EEv20rocsparse_operation_S3_16rocsparse_order_S4_T3_S5_S5_T2_NS_24const_host_device_scalarIT1_EEPKT4_lPKT5_lS9_PT6_PKS5_21rocsparse_index_base_b
    .private_segment_fixed_size: 0
    .sgpr_count:     28
    .sgpr_spill_count: 0
    .symbol:         _ZN9rocsparseL16sddmm_ell_kernelILi512ELi8E21rocsparse_complex_numIfEllS2_S2_S2_EEv20rocsparse_operation_S3_16rocsparse_order_S4_T3_S5_S5_T2_NS_24const_host_device_scalarIT1_EEPKT4_lPKT5_lS9_PT6_PKS5_21rocsparse_index_base_b.kd
    .uniform_work_group_size: 1
    .uses_dynamic_stack: false
    .vgpr_count:     23
    .vgpr_spill_count: 0
    .wavefront_size: 64
  - .args:
      - .offset:         0
        .size:           4
        .value_kind:     by_value
      - .offset:         4
        .size:           4
        .value_kind:     by_value
      - .offset:         8
        .size:           4
        .value_kind:     by_value
      - .offset:         12
        .size:           4
        .value_kind:     by_value
      - .offset:         16
        .size:           8
        .value_kind:     by_value
      - .offset:         24
        .size:           8
        .value_kind:     by_value
      - .offset:         32
        .size:           8
        .value_kind:     by_value
      - .offset:         40
        .size:           8
        .value_kind:     by_value
      - .offset:         48
        .size:           8
        .value_kind:     by_value
      - .actual_access:  read_only
        .address_space:  global
        .offset:         56
        .size:           8
        .value_kind:     global_buffer
      - .offset:         64
        .size:           8
        .value_kind:     by_value
      - .actual_access:  read_only
        .address_space:  global
        .offset:         72
        .size:           8
        .value_kind:     global_buffer
      - .offset:         80
        .size:           8
        .value_kind:     by_value
      - .offset:         88
        .size:           8
        .value_kind:     by_value
      - .address_space:  global
        .offset:         96
        .size:           8
        .value_kind:     global_buffer
      - .actual_access:  read_only
        .address_space:  global
        .offset:         104
        .size:           8
        .value_kind:     global_buffer
      - .offset:         112
        .size:           4
        .value_kind:     by_value
      - .offset:         116
        .size:           1
        .value_kind:     by_value
    .group_segment_fixed_size: 4096
    .kernarg_segment_align: 8
    .kernarg_segment_size: 120
    .language:       OpenCL C
    .language_version:
      - 2
      - 0
    .max_flat_workgroup_size: 512
    .name:           _ZN9rocsparseL16sddmm_ell_kernelILi512ELi4E21rocsparse_complex_numIfEllS2_S2_S2_EEv20rocsparse_operation_S3_16rocsparse_order_S4_T3_S5_S5_T2_NS_24const_host_device_scalarIT1_EEPKT4_lPKT5_lS9_PT6_PKS5_21rocsparse_index_base_b
    .private_segment_fixed_size: 0
    .sgpr_count:     28
    .sgpr_spill_count: 0
    .symbol:         _ZN9rocsparseL16sddmm_ell_kernelILi512ELi4E21rocsparse_complex_numIfEllS2_S2_S2_EEv20rocsparse_operation_S3_16rocsparse_order_S4_T3_S5_S5_T2_NS_24const_host_device_scalarIT1_EEPKT4_lPKT5_lS9_PT6_PKS5_21rocsparse_index_base_b.kd
    .uniform_work_group_size: 1
    .uses_dynamic_stack: false
    .vgpr_count:     23
    .vgpr_spill_count: 0
    .wavefront_size: 64
  - .args:
      - .offset:         0
        .size:           4
        .value_kind:     by_value
      - .offset:         4
        .size:           4
        .value_kind:     by_value
      - .offset:         8
        .size:           4
        .value_kind:     by_value
      - .offset:         12
        .size:           4
        .value_kind:     by_value
      - .offset:         16
        .size:           8
        .value_kind:     by_value
      - .offset:         24
        .size:           8
        .value_kind:     by_value
      - .offset:         32
        .size:           8
        .value_kind:     by_value
      - .offset:         40
        .size:           8
        .value_kind:     by_value
      - .offset:         48
        .size:           8
        .value_kind:     by_value
      - .actual_access:  read_only
        .address_space:  global
        .offset:         56
        .size:           8
        .value_kind:     global_buffer
      - .offset:         64
        .size:           8
        .value_kind:     by_value
      - .actual_access:  read_only
        .address_space:  global
        .offset:         72
        .size:           8
        .value_kind:     global_buffer
      - .offset:         80
        .size:           8
        .value_kind:     by_value
      - .offset:         88
        .size:           8
        .value_kind:     by_value
      - .address_space:  global
        .offset:         96
        .size:           8
        .value_kind:     global_buffer
      - .actual_access:  read_only
        .address_space:  global
        .offset:         104
        .size:           8
        .value_kind:     global_buffer
      - .offset:         112
        .size:           4
        .value_kind:     by_value
      - .offset:         116
        .size:           1
        .value_kind:     by_value
    .group_segment_fixed_size: 4096
    .kernarg_segment_align: 8
    .kernarg_segment_size: 120
    .language:       OpenCL C
    .language_version:
      - 2
      - 0
    .max_flat_workgroup_size: 512
    .name:           _ZN9rocsparseL16sddmm_ell_kernelILi512ELi2E21rocsparse_complex_numIfEllS2_S2_S2_EEv20rocsparse_operation_S3_16rocsparse_order_S4_T3_S5_S5_T2_NS_24const_host_device_scalarIT1_EEPKT4_lPKT5_lS9_PT6_PKS5_21rocsparse_index_base_b
    .private_segment_fixed_size: 0
    .sgpr_count:     28
    .sgpr_spill_count: 0
    .symbol:         _ZN9rocsparseL16sddmm_ell_kernelILi512ELi2E21rocsparse_complex_numIfEllS2_S2_S2_EEv20rocsparse_operation_S3_16rocsparse_order_S4_T3_S5_S5_T2_NS_24const_host_device_scalarIT1_EEPKT4_lPKT5_lS9_PT6_PKS5_21rocsparse_index_base_b.kd
    .uniform_work_group_size: 1
    .uses_dynamic_stack: false
    .vgpr_count:     23
    .vgpr_spill_count: 0
    .wavefront_size: 64
  - .args:
      - .offset:         0
        .size:           4
        .value_kind:     by_value
      - .offset:         4
        .size:           4
        .value_kind:     by_value
      - .offset:         8
        .size:           4
        .value_kind:     by_value
      - .offset:         12
        .size:           4
        .value_kind:     by_value
      - .offset:         16
        .size:           8
        .value_kind:     by_value
      - .offset:         24
        .size:           8
        .value_kind:     by_value
      - .offset:         32
        .size:           8
        .value_kind:     by_value
      - .offset:         40
        .size:           8
        .value_kind:     by_value
      - .offset:         48
        .size:           8
        .value_kind:     by_value
      - .actual_access:  read_only
        .address_space:  global
        .offset:         56
        .size:           8
        .value_kind:     global_buffer
      - .offset:         64
        .size:           8
        .value_kind:     by_value
      - .actual_access:  read_only
        .address_space:  global
        .offset:         72
        .size:           8
        .value_kind:     global_buffer
      - .offset:         80
        .size:           8
        .value_kind:     by_value
      - .offset:         88
        .size:           8
        .value_kind:     by_value
      - .address_space:  global
        .offset:         96
        .size:           8
        .value_kind:     global_buffer
      - .actual_access:  read_only
        .address_space:  global
        .offset:         104
        .size:           8
        .value_kind:     global_buffer
      - .offset:         112
        .size:           4
        .value_kind:     by_value
      - .offset:         116
        .size:           1
        .value_kind:     by_value
    .group_segment_fixed_size: 4096
    .kernarg_segment_align: 8
    .kernarg_segment_size: 120
    .language:       OpenCL C
    .language_version:
      - 2
      - 0
    .max_flat_workgroup_size: 512
    .name:           _ZN9rocsparseL16sddmm_ell_kernelILi512ELi1E21rocsparse_complex_numIfEllS2_S2_S2_EEv20rocsparse_operation_S3_16rocsparse_order_S4_T3_S5_S5_T2_NS_24const_host_device_scalarIT1_EEPKT4_lPKT5_lS9_PT6_PKS5_21rocsparse_index_base_b
    .private_segment_fixed_size: 0
    .sgpr_count:     28
    .sgpr_spill_count: 0
    .symbol:         _ZN9rocsparseL16sddmm_ell_kernelILi512ELi1E21rocsparse_complex_numIfEllS2_S2_S2_EEv20rocsparse_operation_S3_16rocsparse_order_S4_T3_S5_S5_T2_NS_24const_host_device_scalarIT1_EEPKT4_lPKT5_lS9_PT6_PKS5_21rocsparse_index_base_b.kd
    .uniform_work_group_size: 1
    .uses_dynamic_stack: false
    .vgpr_count:     20
    .vgpr_spill_count: 0
    .wavefront_size: 64
  - .args:
      - .offset:         0
        .size:           8
        .value_kind:     by_value
      - .offset:         8
        .size:           8
        .value_kind:     by_value
      - .actual_access:  read_only
        .address_space:  global
        .offset:         16
        .size:           8
        .value_kind:     global_buffer
      - .offset:         24
        .size:           8
        .value_kind:     by_value
      - .offset:         32
        .size:           8
        .value_kind:     by_value
      - .actual_access:  write_only
        .address_space:  global
        .offset:         40
        .size:           8
        .value_kind:     global_buffer
      - .actual_access:  read_only
        .address_space:  global
        .offset:         48
        .size:           8
        .value_kind:     global_buffer
      - .offset:         56
        .size:           4
        .value_kind:     by_value
    .group_segment_fixed_size: 0
    .kernarg_segment_align: 8
    .kernarg_segment_size: 60
    .language:       OpenCL C
    .language_version:
      - 2
      - 0
    .max_flat_workgroup_size: 512
    .name:           _ZN9rocsparseL23sddmm_ell_sample_kernelILi16ELi32E21rocsparse_complex_numIdElS2_EEvT2_S3_PKT3_lS3_PS4_PKS3_21rocsparse_index_base_
    .private_segment_fixed_size: 0
    .sgpr_count:     22
    .sgpr_spill_count: 0
    .symbol:         _ZN9rocsparseL23sddmm_ell_sample_kernelILi16ELi32E21rocsparse_complex_numIdElS2_EEvT2_S3_PKT3_lS3_PS4_PKS3_21rocsparse_index_base_.kd
    .uniform_work_group_size: 1
    .uses_dynamic_stack: false
    .vgpr_count:     12
    .vgpr_spill_count: 0
    .wavefront_size: 64
  - .args:
      - .offset:         0
        .size:           8
        .value_kind:     by_value
      - .offset:         8
        .size:           8
        .value_kind:     by_value
      - .actual_access:  read_only
        .address_space:  global
        .offset:         16
        .size:           8
        .value_kind:     global_buffer
      - .offset:         24
        .size:           8
        .value_kind:     by_value
      - .offset:         32
        .size:           8
        .value_kind:     by_value
      - .actual_access:  write_only
        .address_space:  global
        .offset:         40
        .size:           8
        .value_kind:     global_buffer
      - .actual_access:  read_only
        .address_space:  global
        .offset:         48
        .size:           8
        .value_kind:     global_buffer
      - .offset:         56
        .size:           4
        .value_kind:     by_value
    .group_segment_fixed_size: 0
    .kernarg_segment_align: 8
    .kernarg_segment_size: 60
    .language:       OpenCL C
    .language_version:
      - 2
      - 0
    .max_flat_workgroup_size: 1024
    .name:           _ZN9rocsparseL23sddmm_ell_sample_kernelILi16ELi64E21rocsparse_complex_numIdElS2_EEvT2_S3_PKT3_lS3_PS4_PKS3_21rocsparse_index_base_
    .private_segment_fixed_size: 0
    .sgpr_count:     22
    .sgpr_spill_count: 0
    .symbol:         _ZN9rocsparseL23sddmm_ell_sample_kernelILi16ELi64E21rocsparse_complex_numIdElS2_EEvT2_S3_PKT3_lS3_PS4_PKS3_21rocsparse_index_base_.kd
    .uniform_work_group_size: 1
    .uses_dynamic_stack: false
    .vgpr_count:     12
    .vgpr_spill_count: 0
    .wavefront_size: 64
  - .args:
      - .offset:         0
        .size:           4
        .value_kind:     by_value
      - .offset:         4
        .size:           4
        .value_kind:     by_value
      - .offset:         8
        .size:           4
        .value_kind:     by_value
      - .offset:         12
        .size:           4
        .value_kind:     by_value
      - .offset:         16
        .size:           8
        .value_kind:     by_value
      - .offset:         24
        .size:           8
        .value_kind:     by_value
      - .offset:         32
        .size:           8
        .value_kind:     by_value
      - .offset:         40
        .size:           8
        .value_kind:     by_value
      - .offset:         48
        .size:           16
        .value_kind:     by_value
      - .actual_access:  read_only
        .address_space:  global
        .offset:         64
        .size:           8
        .value_kind:     global_buffer
      - .offset:         72
        .size:           8
        .value_kind:     by_value
      - .actual_access:  read_only
        .address_space:  global
        .offset:         80
        .size:           8
        .value_kind:     global_buffer
      - .offset:         88
        .size:           8
        .value_kind:     by_value
      - .offset:         96
        .size:           16
        .value_kind:     by_value
      - .address_space:  global
        .offset:         112
        .size:           8
        .value_kind:     global_buffer
      - .actual_access:  read_only
        .address_space:  global
        .offset:         120
        .size:           8
        .value_kind:     global_buffer
      - .offset:         128
        .size:           4
        .value_kind:     by_value
      - .offset:         132
        .size:           1
        .value_kind:     by_value
    .group_segment_fixed_size: 8192
    .kernarg_segment_align: 8
    .kernarg_segment_size: 136
    .language:       OpenCL C
    .language_version:
      - 2
      - 0
    .max_flat_workgroup_size: 512
    .name:           _ZN9rocsparseL16sddmm_ell_kernelILi512ELi8E21rocsparse_complex_numIdEllS2_S2_S2_EEv20rocsparse_operation_S3_16rocsparse_order_S4_T3_S5_S5_T2_NS_24const_host_device_scalarIT1_EEPKT4_lPKT5_lS9_PT6_PKS5_21rocsparse_index_base_b
    .private_segment_fixed_size: 0
    .sgpr_count:     28
    .sgpr_spill_count: 0
    .symbol:         _ZN9rocsparseL16sddmm_ell_kernelILi512ELi8E21rocsparse_complex_numIdEllS2_S2_S2_EEv20rocsparse_operation_S3_16rocsparse_order_S4_T3_S5_S5_T2_NS_24const_host_device_scalarIT1_EEPKT4_lPKT5_lS9_PT6_PKS5_21rocsparse_index_base_b.kd
    .uniform_work_group_size: 1
    .uses_dynamic_stack: false
    .vgpr_count:     35
    .vgpr_spill_count: 0
    .wavefront_size: 64
  - .args:
      - .offset:         0
        .size:           4
        .value_kind:     by_value
      - .offset:         4
        .size:           4
        .value_kind:     by_value
      - .offset:         8
        .size:           4
        .value_kind:     by_value
      - .offset:         12
        .size:           4
        .value_kind:     by_value
      - .offset:         16
        .size:           8
        .value_kind:     by_value
      - .offset:         24
        .size:           8
        .value_kind:     by_value
      - .offset:         32
        .size:           8
        .value_kind:     by_value
      - .offset:         40
        .size:           8
        .value_kind:     by_value
      - .offset:         48
        .size:           16
        .value_kind:     by_value
      - .actual_access:  read_only
        .address_space:  global
        .offset:         64
        .size:           8
        .value_kind:     global_buffer
      - .offset:         72
        .size:           8
        .value_kind:     by_value
      - .actual_access:  read_only
        .address_space:  global
        .offset:         80
        .size:           8
        .value_kind:     global_buffer
      - .offset:         88
        .size:           8
        .value_kind:     by_value
      - .offset:         96
        .size:           16
        .value_kind:     by_value
      - .address_space:  global
        .offset:         112
        .size:           8
        .value_kind:     global_buffer
      - .actual_access:  read_only
        .address_space:  global
        .offset:         120
        .size:           8
        .value_kind:     global_buffer
      - .offset:         128
        .size:           4
        .value_kind:     by_value
      - .offset:         132
        .size:           1
        .value_kind:     by_value
    .group_segment_fixed_size: 8192
    .kernarg_segment_align: 8
    .kernarg_segment_size: 136
    .language:       OpenCL C
    .language_version:
      - 2
      - 0
    .max_flat_workgroup_size: 512
    .name:           _ZN9rocsparseL16sddmm_ell_kernelILi512ELi4E21rocsparse_complex_numIdEllS2_S2_S2_EEv20rocsparse_operation_S3_16rocsparse_order_S4_T3_S5_S5_T2_NS_24const_host_device_scalarIT1_EEPKT4_lPKT5_lS9_PT6_PKS5_21rocsparse_index_base_b
    .private_segment_fixed_size: 0
    .sgpr_count:     28
    .sgpr_spill_count: 0
    .symbol:         _ZN9rocsparseL16sddmm_ell_kernelILi512ELi4E21rocsparse_complex_numIdEllS2_S2_S2_EEv20rocsparse_operation_S3_16rocsparse_order_S4_T3_S5_S5_T2_NS_24const_host_device_scalarIT1_EEPKT4_lPKT5_lS9_PT6_PKS5_21rocsparse_index_base_b.kd
    .uniform_work_group_size: 1
    .uses_dynamic_stack: false
    .vgpr_count:     35
    .vgpr_spill_count: 0
    .wavefront_size: 64
  - .args:
      - .offset:         0
        .size:           4
        .value_kind:     by_value
      - .offset:         4
        .size:           4
        .value_kind:     by_value
      - .offset:         8
        .size:           4
        .value_kind:     by_value
      - .offset:         12
        .size:           4
        .value_kind:     by_value
      - .offset:         16
        .size:           8
        .value_kind:     by_value
      - .offset:         24
        .size:           8
        .value_kind:     by_value
      - .offset:         32
        .size:           8
        .value_kind:     by_value
      - .offset:         40
        .size:           8
        .value_kind:     by_value
      - .offset:         48
        .size:           16
        .value_kind:     by_value
      - .actual_access:  read_only
        .address_space:  global
        .offset:         64
        .size:           8
        .value_kind:     global_buffer
      - .offset:         72
        .size:           8
        .value_kind:     by_value
      - .actual_access:  read_only
        .address_space:  global
        .offset:         80
        .size:           8
        .value_kind:     global_buffer
      - .offset:         88
        .size:           8
        .value_kind:     by_value
      - .offset:         96
        .size:           16
        .value_kind:     by_value
      - .address_space:  global
        .offset:         112
        .size:           8
        .value_kind:     global_buffer
      - .actual_access:  read_only
        .address_space:  global
        .offset:         120
        .size:           8
        .value_kind:     global_buffer
      - .offset:         128
        .size:           4
        .value_kind:     by_value
      - .offset:         132
        .size:           1
        .value_kind:     by_value
    .group_segment_fixed_size: 8192
    .kernarg_segment_align: 8
    .kernarg_segment_size: 136
    .language:       OpenCL C
    .language_version:
      - 2
      - 0
    .max_flat_workgroup_size: 512
    .name:           _ZN9rocsparseL16sddmm_ell_kernelILi512ELi2E21rocsparse_complex_numIdEllS2_S2_S2_EEv20rocsparse_operation_S3_16rocsparse_order_S4_T3_S5_S5_T2_NS_24const_host_device_scalarIT1_EEPKT4_lPKT5_lS9_PT6_PKS5_21rocsparse_index_base_b
    .private_segment_fixed_size: 0
    .sgpr_count:     28
    .sgpr_spill_count: 0
    .symbol:         _ZN9rocsparseL16sddmm_ell_kernelILi512ELi2E21rocsparse_complex_numIdEllS2_S2_S2_EEv20rocsparse_operation_S3_16rocsparse_order_S4_T3_S5_S5_T2_NS_24const_host_device_scalarIT1_EEPKT4_lPKT5_lS9_PT6_PKS5_21rocsparse_index_base_b.kd
    .uniform_work_group_size: 1
    .uses_dynamic_stack: false
    .vgpr_count:     35
    .vgpr_spill_count: 0
    .wavefront_size: 64
  - .args:
      - .offset:         0
        .size:           4
        .value_kind:     by_value
      - .offset:         4
        .size:           4
        .value_kind:     by_value
      - .offset:         8
        .size:           4
        .value_kind:     by_value
      - .offset:         12
        .size:           4
        .value_kind:     by_value
      - .offset:         16
        .size:           8
        .value_kind:     by_value
      - .offset:         24
        .size:           8
        .value_kind:     by_value
      - .offset:         32
        .size:           8
        .value_kind:     by_value
      - .offset:         40
        .size:           8
        .value_kind:     by_value
      - .offset:         48
        .size:           16
        .value_kind:     by_value
      - .actual_access:  read_only
        .address_space:  global
        .offset:         64
        .size:           8
        .value_kind:     global_buffer
      - .offset:         72
        .size:           8
        .value_kind:     by_value
      - .actual_access:  read_only
        .address_space:  global
        .offset:         80
        .size:           8
        .value_kind:     global_buffer
      - .offset:         88
        .size:           8
        .value_kind:     by_value
      - .offset:         96
        .size:           16
        .value_kind:     by_value
      - .address_space:  global
        .offset:         112
        .size:           8
        .value_kind:     global_buffer
      - .actual_access:  read_only
        .address_space:  global
        .offset:         120
        .size:           8
        .value_kind:     global_buffer
      - .offset:         128
        .size:           4
        .value_kind:     by_value
      - .offset:         132
        .size:           1
        .value_kind:     by_value
    .group_segment_fixed_size: 8192
    .kernarg_segment_align: 8
    .kernarg_segment_size: 136
    .language:       OpenCL C
    .language_version:
      - 2
      - 0
    .max_flat_workgroup_size: 512
    .name:           _ZN9rocsparseL16sddmm_ell_kernelILi512ELi1E21rocsparse_complex_numIdEllS2_S2_S2_EEv20rocsparse_operation_S3_16rocsparse_order_S4_T3_S5_S5_T2_NS_24const_host_device_scalarIT1_EEPKT4_lPKT5_lS9_PT6_PKS5_21rocsparse_index_base_b
    .private_segment_fixed_size: 0
    .sgpr_count:     28
    .sgpr_spill_count: 0
    .symbol:         _ZN9rocsparseL16sddmm_ell_kernelILi512ELi1E21rocsparse_complex_numIdEllS2_S2_S2_EEv20rocsparse_operation_S3_16rocsparse_order_S4_T3_S5_S5_T2_NS_24const_host_device_scalarIT1_EEPKT4_lPKT5_lS9_PT6_PKS5_21rocsparse_index_base_b.kd
    .uniform_work_group_size: 1
    .uses_dynamic_stack: false
    .vgpr_count:     31
    .vgpr_spill_count: 0
    .wavefront_size: 64
  - .args:
      - .offset:         0
        .size:           4
        .value_kind:     by_value
      - .offset:         4
        .size:           4
        .value_kind:     by_value
      - .offset:         8
        .size:           4
        .value_kind:     by_value
      - .offset:         12
        .size:           4
        .value_kind:     by_value
      - .offset:         16
        .size:           4
        .value_kind:     by_value
      - .offset:         20
        .size:           4
        .value_kind:     by_value
      - .offset:         24
        .size:           4
        .value_kind:     by_value
      - .offset:         28
        .size:           4
        .value_kind:     by_value
      - .offset:         32
        .size:           8
        .value_kind:     by_value
      - .actual_access:  read_only
        .address_space:  global
        .offset:         40
        .size:           8
        .value_kind:     global_buffer
      - .offset:         48
        .size:           8
        .value_kind:     by_value
      - .actual_access:  read_only
        .address_space:  global
        .offset:         56
        .size:           8
        .value_kind:     global_buffer
      - .offset:         64
        .size:           8
        .value_kind:     by_value
      - .offset:         72
        .size:           8
        .value_kind:     by_value
      - .address_space:  global
        .offset:         80
        .size:           8
        .value_kind:     global_buffer
      - .actual_access:  read_only
        .address_space:  global
        .offset:         88
        .size:           8
        .value_kind:     global_buffer
      - .offset:         96
        .size:           4
        .value_kind:     by_value
      - .offset:         100
        .size:           1
        .value_kind:     by_value
    .group_segment_fixed_size: 2048
    .kernarg_segment_align: 8
    .kernarg_segment_size: 104
    .language:       OpenCL C
    .language_version:
      - 2
      - 0
    .max_flat_workgroup_size: 512
    .name:           _ZN9rocsparseL16sddmm_ell_kernelILi512ELi8EfiiDF16_DF16_fEEv20rocsparse_operation_S1_16rocsparse_order_S2_T3_S3_S3_T2_NS_24const_host_device_scalarIT1_EEPKT4_lPKT5_lS7_PT6_PKS3_21rocsparse_index_base_b
    .private_segment_fixed_size: 0
    .sgpr_count:     30
    .sgpr_spill_count: 0
    .symbol:         _ZN9rocsparseL16sddmm_ell_kernelILi512ELi8EfiiDF16_DF16_fEEv20rocsparse_operation_S1_16rocsparse_order_S2_T3_S3_S3_T2_NS_24const_host_device_scalarIT1_EEPKT4_lPKT5_lS7_PT6_PKS3_21rocsparse_index_base_b.kd
    .uniform_work_group_size: 1
    .uses_dynamic_stack: false
    .vgpr_count:     15
    .vgpr_spill_count: 0
    .wavefront_size: 64
  - .args:
      - .offset:         0
        .size:           4
        .value_kind:     by_value
      - .offset:         4
        .size:           4
        .value_kind:     by_value
      - .offset:         8
        .size:           4
        .value_kind:     by_value
      - .offset:         12
        .size:           4
        .value_kind:     by_value
      - .offset:         16
        .size:           4
        .value_kind:     by_value
      - .offset:         20
        .size:           4
        .value_kind:     by_value
      - .offset:         24
        .size:           4
        .value_kind:     by_value
      - .offset:         28
        .size:           4
        .value_kind:     by_value
      - .offset:         32
        .size:           8
        .value_kind:     by_value
      - .actual_access:  read_only
        .address_space:  global
        .offset:         40
        .size:           8
        .value_kind:     global_buffer
      - .offset:         48
        .size:           8
        .value_kind:     by_value
      - .actual_access:  read_only
        .address_space:  global
        .offset:         56
        .size:           8
        .value_kind:     global_buffer
      - .offset:         64
        .size:           8
        .value_kind:     by_value
      - .offset:         72
        .size:           8
        .value_kind:     by_value
      - .address_space:  global
        .offset:         80
        .size:           8
        .value_kind:     global_buffer
      - .actual_access:  read_only
        .address_space:  global
        .offset:         88
        .size:           8
        .value_kind:     global_buffer
      - .offset:         96
        .size:           4
        .value_kind:     by_value
      - .offset:         100
        .size:           1
        .value_kind:     by_value
    .group_segment_fixed_size: 2048
    .kernarg_segment_align: 8
    .kernarg_segment_size: 104
    .language:       OpenCL C
    .language_version:
      - 2
      - 0
    .max_flat_workgroup_size: 512
    .name:           _ZN9rocsparseL16sddmm_ell_kernelILi512ELi4EfiiDF16_DF16_fEEv20rocsparse_operation_S1_16rocsparse_order_S2_T3_S3_S3_T2_NS_24const_host_device_scalarIT1_EEPKT4_lPKT5_lS7_PT6_PKS3_21rocsparse_index_base_b
    .private_segment_fixed_size: 0
    .sgpr_count:     30
    .sgpr_spill_count: 0
    .symbol:         _ZN9rocsparseL16sddmm_ell_kernelILi512ELi4EfiiDF16_DF16_fEEv20rocsparse_operation_S1_16rocsparse_order_S2_T3_S3_S3_T2_NS_24const_host_device_scalarIT1_EEPKT4_lPKT5_lS7_PT6_PKS3_21rocsparse_index_base_b.kd
    .uniform_work_group_size: 1
    .uses_dynamic_stack: false
    .vgpr_count:     15
    .vgpr_spill_count: 0
    .wavefront_size: 64
  - .args:
      - .offset:         0
        .size:           4
        .value_kind:     by_value
      - .offset:         4
        .size:           4
        .value_kind:     by_value
      - .offset:         8
        .size:           4
        .value_kind:     by_value
      - .offset:         12
        .size:           4
        .value_kind:     by_value
      - .offset:         16
        .size:           4
        .value_kind:     by_value
      - .offset:         20
        .size:           4
        .value_kind:     by_value
      - .offset:         24
        .size:           4
        .value_kind:     by_value
      - .offset:         28
        .size:           4
        .value_kind:     by_value
      - .offset:         32
        .size:           8
        .value_kind:     by_value
      - .actual_access:  read_only
        .address_space:  global
        .offset:         40
        .size:           8
        .value_kind:     global_buffer
      - .offset:         48
        .size:           8
        .value_kind:     by_value
      - .actual_access:  read_only
        .address_space:  global
        .offset:         56
        .size:           8
        .value_kind:     global_buffer
      - .offset:         64
        .size:           8
        .value_kind:     by_value
      - .offset:         72
        .size:           8
        .value_kind:     by_value
      - .address_space:  global
        .offset:         80
        .size:           8
        .value_kind:     global_buffer
      - .actual_access:  read_only
        .address_space:  global
        .offset:         88
        .size:           8
        .value_kind:     global_buffer
      - .offset:         96
        .size:           4
        .value_kind:     by_value
      - .offset:         100
        .size:           1
        .value_kind:     by_value
    .group_segment_fixed_size: 2048
    .kernarg_segment_align: 8
    .kernarg_segment_size: 104
    .language:       OpenCL C
    .language_version:
      - 2
      - 0
    .max_flat_workgroup_size: 512
    .name:           _ZN9rocsparseL16sddmm_ell_kernelILi512ELi2EfiiDF16_DF16_fEEv20rocsparse_operation_S1_16rocsparse_order_S2_T3_S3_S3_T2_NS_24const_host_device_scalarIT1_EEPKT4_lPKT5_lS7_PT6_PKS3_21rocsparse_index_base_b
    .private_segment_fixed_size: 0
    .sgpr_count:     32
    .sgpr_spill_count: 0
    .symbol:         _ZN9rocsparseL16sddmm_ell_kernelILi512ELi2EfiiDF16_DF16_fEEv20rocsparse_operation_S1_16rocsparse_order_S2_T3_S3_S3_T2_NS_24const_host_device_scalarIT1_EEPKT4_lPKT5_lS7_PT6_PKS3_21rocsparse_index_base_b.kd
    .uniform_work_group_size: 1
    .uses_dynamic_stack: false
    .vgpr_count:     14
    .vgpr_spill_count: 0
    .wavefront_size: 64
  - .args:
      - .offset:         0
        .size:           4
        .value_kind:     by_value
      - .offset:         4
        .size:           4
        .value_kind:     by_value
      - .offset:         8
        .size:           4
        .value_kind:     by_value
      - .offset:         12
        .size:           4
        .value_kind:     by_value
      - .offset:         16
        .size:           4
        .value_kind:     by_value
      - .offset:         20
        .size:           4
        .value_kind:     by_value
      - .offset:         24
        .size:           4
        .value_kind:     by_value
      - .offset:         28
        .size:           4
        .value_kind:     by_value
      - .offset:         32
        .size:           8
        .value_kind:     by_value
      - .actual_access:  read_only
        .address_space:  global
        .offset:         40
        .size:           8
        .value_kind:     global_buffer
      - .offset:         48
        .size:           8
        .value_kind:     by_value
      - .actual_access:  read_only
        .address_space:  global
        .offset:         56
        .size:           8
        .value_kind:     global_buffer
      - .offset:         64
        .size:           8
        .value_kind:     by_value
      - .offset:         72
        .size:           8
        .value_kind:     by_value
      - .address_space:  global
        .offset:         80
        .size:           8
        .value_kind:     global_buffer
      - .actual_access:  read_only
        .address_space:  global
        .offset:         88
        .size:           8
        .value_kind:     global_buffer
      - .offset:         96
        .size:           4
        .value_kind:     by_value
      - .offset:         100
        .size:           1
        .value_kind:     by_value
    .group_segment_fixed_size: 2048
    .kernarg_segment_align: 8
    .kernarg_segment_size: 104
    .language:       OpenCL C
    .language_version:
      - 2
      - 0
    .max_flat_workgroup_size: 512
    .name:           _ZN9rocsparseL16sddmm_ell_kernelILi512ELi1EfiiDF16_DF16_fEEv20rocsparse_operation_S1_16rocsparse_order_S2_T3_S3_S3_T2_NS_24const_host_device_scalarIT1_EEPKT4_lPKT5_lS7_PT6_PKS3_21rocsparse_index_base_b
    .private_segment_fixed_size: 0
    .sgpr_count:     30
    .sgpr_spill_count: 0
    .symbol:         _ZN9rocsparseL16sddmm_ell_kernelILi512ELi1EfiiDF16_DF16_fEEv20rocsparse_operation_S1_16rocsparse_order_S2_T3_S3_S3_T2_NS_24const_host_device_scalarIT1_EEPKT4_lPKT5_lS7_PT6_PKS3_21rocsparse_index_base_b.kd
    .uniform_work_group_size: 1
    .uses_dynamic_stack: false
    .vgpr_count:     12
    .vgpr_spill_count: 0
    .wavefront_size: 64
  - .args:
      - .offset:         0
        .size:           4
        .value_kind:     by_value
      - .offset:         4
        .size:           4
        .value_kind:     by_value
      - .offset:         8
        .size:           4
        .value_kind:     by_value
      - .offset:         12
        .size:           4
        .value_kind:     by_value
      - .offset:         16
        .size:           8
        .value_kind:     by_value
      - .offset:         24
        .size:           8
        .value_kind:     by_value
      - .offset:         32
        .size:           8
        .value_kind:     by_value
      - .offset:         40
        .size:           8
        .value_kind:     by_value
      - .offset:         48
        .size:           8
        .value_kind:     by_value
      - .actual_access:  read_only
        .address_space:  global
        .offset:         56
        .size:           8
        .value_kind:     global_buffer
      - .offset:         64
        .size:           8
        .value_kind:     by_value
      - .actual_access:  read_only
        .address_space:  global
        .offset:         72
        .size:           8
        .value_kind:     global_buffer
      - .offset:         80
        .size:           8
        .value_kind:     by_value
      - .offset:         88
        .size:           8
        .value_kind:     by_value
      - .address_space:  global
        .offset:         96
        .size:           8
        .value_kind:     global_buffer
      - .actual_access:  read_only
        .address_space:  global
        .offset:         104
        .size:           8
        .value_kind:     global_buffer
      - .offset:         112
        .size:           4
        .value_kind:     by_value
      - .offset:         116
        .size:           1
        .value_kind:     by_value
    .group_segment_fixed_size: 2048
    .kernarg_segment_align: 8
    .kernarg_segment_size: 120
    .language:       OpenCL C
    .language_version:
      - 2
      - 0
    .max_flat_workgroup_size: 512
    .name:           _ZN9rocsparseL16sddmm_ell_kernelILi512ELi8EfllDF16_DF16_fEEv20rocsparse_operation_S1_16rocsparse_order_S2_T3_S3_S3_T2_NS_24const_host_device_scalarIT1_EEPKT4_lPKT5_lS7_PT6_PKS3_21rocsparse_index_base_b
    .private_segment_fixed_size: 0
    .sgpr_count:     30
    .sgpr_spill_count: 0
    .symbol:         _ZN9rocsparseL16sddmm_ell_kernelILi512ELi8EfllDF16_DF16_fEEv20rocsparse_operation_S1_16rocsparse_order_S2_T3_S3_S3_T2_NS_24const_host_device_scalarIT1_EEPKT4_lPKT5_lS7_PT6_PKS3_21rocsparse_index_base_b.kd
    .uniform_work_group_size: 1
    .uses_dynamic_stack: false
    .vgpr_count:     15
    .vgpr_spill_count: 0
    .wavefront_size: 64
  - .args:
      - .offset:         0
        .size:           4
        .value_kind:     by_value
      - .offset:         4
        .size:           4
        .value_kind:     by_value
      - .offset:         8
        .size:           4
        .value_kind:     by_value
      - .offset:         12
        .size:           4
        .value_kind:     by_value
      - .offset:         16
        .size:           8
        .value_kind:     by_value
      - .offset:         24
        .size:           8
        .value_kind:     by_value
      - .offset:         32
        .size:           8
        .value_kind:     by_value
      - .offset:         40
        .size:           8
        .value_kind:     by_value
      - .offset:         48
        .size:           8
        .value_kind:     by_value
      - .actual_access:  read_only
        .address_space:  global
        .offset:         56
        .size:           8
        .value_kind:     global_buffer
      - .offset:         64
        .size:           8
        .value_kind:     by_value
      - .actual_access:  read_only
        .address_space:  global
        .offset:         72
        .size:           8
        .value_kind:     global_buffer
      - .offset:         80
        .size:           8
        .value_kind:     by_value
      - .offset:         88
        .size:           8
        .value_kind:     by_value
      - .address_space:  global
        .offset:         96
        .size:           8
        .value_kind:     global_buffer
      - .actual_access:  read_only
        .address_space:  global
        .offset:         104
        .size:           8
        .value_kind:     global_buffer
      - .offset:         112
        .size:           4
        .value_kind:     by_value
      - .offset:         116
        .size:           1
        .value_kind:     by_value
    .group_segment_fixed_size: 2048
    .kernarg_segment_align: 8
    .kernarg_segment_size: 120
    .language:       OpenCL C
    .language_version:
      - 2
      - 0
    .max_flat_workgroup_size: 512
    .name:           _ZN9rocsparseL16sddmm_ell_kernelILi512ELi4EfllDF16_DF16_fEEv20rocsparse_operation_S1_16rocsparse_order_S2_T3_S3_S3_T2_NS_24const_host_device_scalarIT1_EEPKT4_lPKT5_lS7_PT6_PKS3_21rocsparse_index_base_b
    .private_segment_fixed_size: 0
    .sgpr_count:     30
    .sgpr_spill_count: 0
    .symbol:         _ZN9rocsparseL16sddmm_ell_kernelILi512ELi4EfllDF16_DF16_fEEv20rocsparse_operation_S1_16rocsparse_order_S2_T3_S3_S3_T2_NS_24const_host_device_scalarIT1_EEPKT4_lPKT5_lS7_PT6_PKS3_21rocsparse_index_base_b.kd
    .uniform_work_group_size: 1
    .uses_dynamic_stack: false
    .vgpr_count:     15
    .vgpr_spill_count: 0
    .wavefront_size: 64
  - .args:
      - .offset:         0
        .size:           4
        .value_kind:     by_value
      - .offset:         4
        .size:           4
        .value_kind:     by_value
      - .offset:         8
        .size:           4
        .value_kind:     by_value
      - .offset:         12
        .size:           4
        .value_kind:     by_value
      - .offset:         16
        .size:           8
        .value_kind:     by_value
      - .offset:         24
        .size:           8
        .value_kind:     by_value
      - .offset:         32
        .size:           8
        .value_kind:     by_value
      - .offset:         40
        .size:           8
        .value_kind:     by_value
      - .offset:         48
        .size:           8
        .value_kind:     by_value
      - .actual_access:  read_only
        .address_space:  global
        .offset:         56
        .size:           8
        .value_kind:     global_buffer
      - .offset:         64
        .size:           8
        .value_kind:     by_value
      - .actual_access:  read_only
        .address_space:  global
        .offset:         72
        .size:           8
        .value_kind:     global_buffer
      - .offset:         80
        .size:           8
        .value_kind:     by_value
      - .offset:         88
        .size:           8
        .value_kind:     by_value
      - .address_space:  global
        .offset:         96
        .size:           8
        .value_kind:     global_buffer
      - .actual_access:  read_only
        .address_space:  global
        .offset:         104
        .size:           8
        .value_kind:     global_buffer
      - .offset:         112
        .size:           4
        .value_kind:     by_value
      - .offset:         116
        .size:           1
        .value_kind:     by_value
    .group_segment_fixed_size: 2048
    .kernarg_segment_align: 8
    .kernarg_segment_size: 120
    .language:       OpenCL C
    .language_version:
      - 2
      - 0
    .max_flat_workgroup_size: 512
    .name:           _ZN9rocsparseL16sddmm_ell_kernelILi512ELi2EfllDF16_DF16_fEEv20rocsparse_operation_S1_16rocsparse_order_S2_T3_S3_S3_T2_NS_24const_host_device_scalarIT1_EEPKT4_lPKT5_lS7_PT6_PKS3_21rocsparse_index_base_b
    .private_segment_fixed_size: 0
    .sgpr_count:     30
    .sgpr_spill_count: 0
    .symbol:         _ZN9rocsparseL16sddmm_ell_kernelILi512ELi2EfllDF16_DF16_fEEv20rocsparse_operation_S1_16rocsparse_order_S2_T3_S3_S3_T2_NS_24const_host_device_scalarIT1_EEPKT4_lPKT5_lS7_PT6_PKS3_21rocsparse_index_base_b.kd
    .uniform_work_group_size: 1
    .uses_dynamic_stack: false
    .vgpr_count:     15
    .vgpr_spill_count: 0
    .wavefront_size: 64
  - .args:
      - .offset:         0
        .size:           4
        .value_kind:     by_value
      - .offset:         4
        .size:           4
        .value_kind:     by_value
      - .offset:         8
        .size:           4
        .value_kind:     by_value
      - .offset:         12
        .size:           4
        .value_kind:     by_value
      - .offset:         16
        .size:           8
        .value_kind:     by_value
      - .offset:         24
        .size:           8
        .value_kind:     by_value
      - .offset:         32
        .size:           8
        .value_kind:     by_value
      - .offset:         40
        .size:           8
        .value_kind:     by_value
      - .offset:         48
        .size:           8
        .value_kind:     by_value
      - .actual_access:  read_only
        .address_space:  global
        .offset:         56
        .size:           8
        .value_kind:     global_buffer
      - .offset:         64
        .size:           8
        .value_kind:     by_value
      - .actual_access:  read_only
        .address_space:  global
        .offset:         72
        .size:           8
        .value_kind:     global_buffer
      - .offset:         80
        .size:           8
        .value_kind:     by_value
      - .offset:         88
        .size:           8
        .value_kind:     by_value
      - .address_space:  global
        .offset:         96
        .size:           8
        .value_kind:     global_buffer
      - .actual_access:  read_only
        .address_space:  global
        .offset:         104
        .size:           8
        .value_kind:     global_buffer
      - .offset:         112
        .size:           4
        .value_kind:     by_value
      - .offset:         116
        .size:           1
        .value_kind:     by_value
    .group_segment_fixed_size: 2048
    .kernarg_segment_align: 8
    .kernarg_segment_size: 120
    .language:       OpenCL C
    .language_version:
      - 2
      - 0
    .max_flat_workgroup_size: 512
    .name:           _ZN9rocsparseL16sddmm_ell_kernelILi512ELi1EfllDF16_DF16_fEEv20rocsparse_operation_S1_16rocsparse_order_S2_T3_S3_S3_T2_NS_24const_host_device_scalarIT1_EEPKT4_lPKT5_lS7_PT6_PKS3_21rocsparse_index_base_b
    .private_segment_fixed_size: 0
    .sgpr_count:     30
    .sgpr_spill_count: 0
    .symbol:         _ZN9rocsparseL16sddmm_ell_kernelILi512ELi1EfllDF16_DF16_fEEv20rocsparse_operation_S1_16rocsparse_order_S2_T3_S3_S3_T2_NS_24const_host_device_scalarIT1_EEPKT4_lPKT5_lS7_PT6_PKS3_21rocsparse_index_base_b.kd
    .uniform_work_group_size: 1
    .uses_dynamic_stack: false
    .vgpr_count:     12
    .vgpr_spill_count: 0
    .wavefront_size: 64
amdhsa.target:   amdgcn-amd-amdhsa--gfx906
amdhsa.version:
  - 1
  - 2
...

	.end_amdgpu_metadata
